;; amdgpu-corpus repo=ROCm/aiter kind=harvested arch=n/a opt=n/a

/root/src/amdgpu-assembly/repos/ROCm__aiter/hsa/gfx950/f8_block_scale_mi350_x32.co:	file format elf64-amdgpu

Disassembly of section .text:

0000000000002900 <f8_block_scale_mi350_x32>:
	s_and_b32 s1, s1, 0xffff                                   // 000000002900: 8601FF01 0000FFFF
	s_load_dwordx2 s[8:9], s[0:1], 0x0                         // 000000002908: C0060200 00000000
	s_load_dwordx2 s[20:21], s[0:1], 0x10                      // 000000002910: C0060500 00000010
	s_load_dwordx2 s[24:25], s[0:1], 0x20                      // 000000002918: C0060600 00000020
	s_load_dwordx2 s[28:29], s[0:1], 0x40                      // 000000002920: C0060700 00000040
	s_load_dwordx2 s[32:33], s[0:1], 0x50                      // 000000002928: C0060800 00000050
	s_mov_b32 s75, 0                                           // 000000002930: BECB0080
	s_load_dword s60, s[0:1], 0x90                             // 000000002934: C0020F00 00000090
	s_load_dword s61, s[0:1], 0xa0                             // 00000000293C: C0020F40 000000A0
	s_load_dword s62, s[0:1], 0xb0                             // 000000002944: C0020F80 000000B0
	s_load_dword s63, s[0:1], 0xc0                             // 00000000294C: C0020FC0 000000C0
	s_load_dword s64, s[0:1], 0xd0                             // 000000002954: C0021000 000000D0
	s_load_dword s65, s[0:1], 0xe0                             // 00000000295C: C0021040 000000E0
	s_load_dword s66, s[0:1], 0xf0                             // 000000002964: C0021080 000000F0
	s_load_dword s74, s[0:1], 0x140                            // 00000000296C: C0021280 00000140
	s_load_dword s75, s[0:1], 0x150                            // 000000002974: C00212C0 00000150
	v_lshrrev_b32_e32 v1, 10, v0                               // 00000000297C: 2002008A
	v_lshrrev_b32_e32 v2, 10, v1                               // 000000002980: 2004028A
	v_and_b32_e32 v2, 0x3ff, v2                                // 000000002984: 260404FF 000003FF
	v_and_b32_e32 v1, 0x3ff, v1                                // 00000000298C: 260202FF 000003FF
	v_and_b32_e32 v0, 0x3ff, v0                                // 000000002994: 260000FF 000003FF
	v_lshrrev_b32_e32 v3, 6, v0                                // 00000000299C: 20060086
	v_and_b32_e32 v0, 63, v0                                   // 0000000029A0: 260000BF
	s_mov_b32 s2, s2                                           // 0000000029A4: BE820002
	s_mov_b32 s3, s3                                           // 0000000029A8: BE830003
	s_mov_b32 s4, s4                                           // 0000000029AC: BE840004
	v_readfirstlane_b32 s7, v3                                 // 0000000029B0: 7E0E0503
	s_waitcnt lgkmcnt(0)                                       // 0000000029B4: BF8CC07F
	s_mov_b32 s46, s62                                         // 0000000029B8: BEAE003E
	s_and_b32 s9, s9, 0xffff                                   // 0000000029BC: 8609FF09 0000FFFF
	s_mul_i32 s52, s62, s64                                    // 0000000029C4: 9234403E
	s_mul_i32 s53, s62, 4                                      // 0000000029C8: 9235843E
	s_mov_b32 s22, s52                                         // 0000000029CC: BE960034
	s_mul_i32 s52, s60, s61                                    // 0000000029D0: 92343D3C
	s_mov_b32 s26, s52                                         // 0000000029D4: BE9A0034
	s_mov_b32 s30, s53                                         // 0000000029D8: BE9E0035
	s_mov_b32 s10, -16                                         // 0000000029DC: BE8A00D0
	s_lshr_b32 s52, s60, 7                                     // 0000000029E0: 8F34873C
	s_mul_i32 s53, s52, 4                                      // 0000000029E4: 92358434
	s_lshr_b32 s52, s61, 7                                     // 0000000029E8: 8F34873D
	s_mul_i32 s52, s52, s53                                    // 0000000029EC: 92343534
	s_mov_b32 s34, s52                                         // 0000000029F0: BEA20034
	s_mov_b32 s23, 0x20000                                     // 0000000029F4: BE9700FF 00020000
	s_mov_b32 s27, 0x20000                                     // 0000000029FC: BE9B00FF 00020000
	s_mov_b32 s31, 0x20000                                     // 000000002A04: BE9F00FF 00020000
	s_mov_b32 s35, 0x20000                                     // 000000002A0C: BEA300FF 00020000
	s_mov_b32 s11, 0x20000                                     // 000000002A14: BE8B00FF 00020000
	s_and_b32 s21, s21, 0xffff                                 // 000000002A1C: 8615FF15 0000FFFF
	s_and_b32 s25, s25, 0xffff                                 // 000000002A24: 8619FF19 0000FFFF
	s_and_b32 s29, s29, 0xffff                                 // 000000002A2C: 861DFF1D 0000FFFF
	s_and_b32 s33, s33, 0xffff                                 // 000000002A34: 8621FF21 0000FFFF
	s_or_b32 s21, s21, 0x40000                                 // 000000002A3C: 8715FF15 00040000
	s_or_b32 s25, s25, 0x40000                                 // 000000002A44: 8719FF19 00040000
	s_or_b32 s29, s29, 0x40000                                 // 000000002A4C: 871DFF1D 00040000
	s_or_b32 s33, s33, 0x40000                                 // 000000002A54: 8721FF21 00040000
	v_accvgpr_write_b32 a63, 0                                 // 000000002A5C: D3D9403F 18000080
	v_mov_b32_e32 v67, 0                                       // 000000002A64: 7E860280
	s_waitcnt lgkmcnt(0)                                       // 000000002A68: BF8CC07F
	s_mul_i32 s52, s3, 32                                      // 000000002A6C: 9234A003
	s_cmp_lt_i32 s52, s46                                      // 000000002A70: BF042E34
	s_cbranch_scc0 label_09FF                                  // 000000002A74: BF84099E
	s_mov_b32 s70, 0                                           // 000000002A78: BEC60080
	s_lshr_b32 s71, s60, s74                                   // 000000002A7C: 8F474A3C
	s_mul_i32 s52, s3, 32                                      // 000000002A80: 9234A003
	v_and_b32_e32 v4, 15, v0                                   // 000000002A84: 2608008F
	v_add_u32_e64 v24, v4, s52                                 // 000000002A88: D1340018 00006904
	v_add_u32_e32 v4, 16, v4                                   // 000000002A90: 68080890
	v_add_u32_e64 v25, v4, s52                                 // 000000002A94: D1340019 00006904
	v_add_u32_e32 v4, 16, v4                                   // 000000002A9C: 68080890
	v_lshlrev_b32_e32 v4, 2, v0                                // 000000002AA0: 24080082
	v_add_u32_e32 v4, s7, v4                                   // 000000002AA4: 68080807
	v_add_u32_e32 v4, s52, v4                                  // 000000002AA8: 68080834
	v_mov_b32_e32 v3, v4                                       // 000000002AAC: 7E060304
	s_lshr_b32 s53, s7, 1                                      // 000000002AB0: 8F358107
	s_mul_i32 s53, s53, 8                                      // 000000002AB4: 92358835
	s_add_u32 s52, s53, s52                                    // 000000002AB8: 80343435
	s_and_b32 s53, s7, 1                                       // 000000002ABC: 86358107
	s_mul_i32 s53, s53, 2                                      // 000000002AC0: 92358235
	s_add_u32 s52, s53, s52                                    // 000000002AC4: 80343435
	v_lshrrev_b32_e32 v4, 3, v0                                // 000000002AC8: 20080083
	v_mul_u32_u24_e32 v7, 32, v4                               // 000000002ACC: 100E08A0
	v_and_b32_e32 v4, 7, v0                                    // 000000002AD0: 26080087
	v_lshrrev_b32_e32 v4, 2, v4                                // 000000002AD4: 20080882
	v_mul_u32_u24_e32 v4, 16, v4                               // 000000002AD8: 10080890
	v_add_u32_e32 v7, v7, v4                                   // 000000002ADC: 680E0907
	v_and_b32_e32 v4, 3, v0                                    // 000000002AE0: 26080083
	v_lshrrev_b32_e32 v4, 1, v4                                // 000000002AE4: 20080881
	v_mul_u32_u24_e32 v4, 4, v4                                // 000000002AE8: 10080884
	v_add_u32_e32 v7, v7, v4                                   // 000000002AEC: 680E0907
	v_and_b32_e32 v4, 1, v0                                    // 000000002AF0: 26080081
	v_add_u32_e32 v7, v7, v4                                   // 000000002AF4: 680E0907
	v_add_u32_e32 v7, s52, v7                                  // 000000002AF8: 680E0E34
	v_mov_b32_e32 v35, v7                                      // 000000002AFC: 7E460307
	v_mov_b32_e32 v36, 0                                       // 000000002B00: 7E480280
	v_mov_b32_e32 v52, 0                                       // 000000002B04: 7E680280
	v_mov_b32_e32 v37, 0                                       // 000000002B08: 7E4A0280
	v_mov_b32_e32 v53, 0                                       // 000000002B0C: 7E6A0280
	v_mov_b32_e32 v38, 0                                       // 000000002B10: 7E4C0280
	v_mov_b32_e32 v54, 0                                       // 000000002B14: 7E6C0280
	v_mov_b32_e32 v39, 0                                       // 000000002B18: 7E4E0280
	v_mov_b32_e32 v55, 0                                       // 000000002B1C: 7E6E0280
	v_mov_b32_e32 v40, 0                                       // 000000002B20: 7E500280
	v_mov_b32_e32 v56, 0                                       // 000000002B24: 7E700280
	v_mov_b32_e32 v41, 0                                       // 000000002B28: 7E520280
	v_mov_b32_e32 v57, 0                                       // 000000002B2C: 7E720280
	v_mov_b32_e32 v42, 0                                       // 000000002B30: 7E540280
	v_mov_b32_e32 v58, 0                                       // 000000002B34: 7E740280
	v_mov_b32_e32 v43, 0                                       // 000000002B38: 7E560280
	v_mov_b32_e32 v59, 0                                       // 000000002B3C: 7E760280
	v_mov_b32_e32 v44, 0                                       // 000000002B40: 7E580280
	v_mov_b32_e32 v60, 0                                       // 000000002B44: 7E780280
	v_mov_b32_e32 v45, 0                                       // 000000002B48: 7E5A0280
	v_mov_b32_e32 v61, 0                                       // 000000002B4C: 7E7A0280
	v_mov_b32_e32 v46, 0                                       // 000000002B50: 7E5C0280
	v_mov_b32_e32 v62, 0                                       // 000000002B54: 7E7C0280
	v_mov_b32_e32 v47, 0                                       // 000000002B58: 7E5E0280
	v_mov_b32_e32 v63, 0                                       // 000000002B5C: 7E7E0280
	v_mov_b32_e32 v48, 0                                       // 000000002B60: 7E600280
	v_mov_b32_e32 v64, 0                                       // 000000002B64: 7E800280
	v_mov_b32_e32 v49, 0                                       // 000000002B68: 7E620280
	v_mov_b32_e32 v65, 0                                       // 000000002B6C: 7E820280
	v_mov_b32_e32 v50, 0                                       // 000000002B70: 7E640280
	v_mov_b32_e32 v66, 0                                       // 000000002B74: 7E840280
	v_mov_b32_e32 v51, 0                                       // 000000002B78: 7E660280
	v_mov_b32_e32 v67, 0                                       // 000000002B7C: 7E860280
	s_mul_i32 s52, s2, 0x200                                   // 000000002B80: 9234FF02 00000200
	s_cmp_eq_u32 s74, 0                                        // 000000002B88: BF06804A
	s_cselect_b32 s53, 1, 2                                    // 000000002B8C: 85358281
	s_mul_i32 s52, s52, s53                                    // 000000002B90: 92343534
	s_mov_b32 s80, s8                                          // 000000002B94: BED00008
	s_mov_b32 s81, s9                                          // 000000002B98: BED10009
	s_add_u32 s8, s52, s8                                      // 000000002B9C: 80080834
	s_addc_u32 s9, 0, s9                                       // 000000002BA0: 82090980
	v_lshrrev_b32_e32 v4, 4, v0                                // 000000002BA4: 20080084
	v_mul_lo_u32 v16, 34, v4                                   // 000000002BA8: D2850010 000208A2
	v_and_b32_e32 v4, 15, v0                                   // 000000002BB0: 2608008F
	v_mul_lo_u32 v5, 2, v4                                     // 000000002BB4: D2850005 00020882
	v_add_u32_e32 v16, v5, v16                                 // 000000002BBC: 68202105
	s_mul_i32 s52, s7, 0x88                                    // 000000002BC0: 9234FF07 00000088
	v_add_u32_e32 v16, s52, v16                                // 000000002BC8: 68202034
	v_lshlrev_b32_e32 v16, 2, v16                              // 000000002BCC: 24202082
	v_and_b32_e32 v4, 31, v0                                   // 000000002BD0: 2608009F
	v_lshrrev_b32_e32 v4, 1, v4                                // 000000002BD4: 20080881
	v_mul_lo_u32 v17, 34, v4                                   // 000000002BD8: D2850011 000208A2
	v_lshrrev_b32_e32 v4, 5, v0                                // 000000002BE0: 20080085
	v_mul_lo_u32 v4, 8, v4                                     // 000000002BE4: D2850004 00020888
	v_add_u32_e32 v17, v17, v4                                 // 000000002BEC: 68220911
	v_and_b32_e32 v5, 1, v0                                    // 000000002BF0: 260A0081
	v_add_u32_e32 v17, v5, v17                                 // 000000002BF4: 68222305
	s_mul_i32 s52, s7, 2                                       // 000000002BF8: 92348207
	v_add_u32_e32 v17, s52, v17                                // 000000002BFC: 68222234
	v_lshlrev_b32_e32 v17, 2, v17                              // 000000002C00: 24222282
	s_mul_i32 s52, s7, 0x420                                   // 000000002C04: 9234FF07 00000420
	s_add_u32 s46, 0, s52                                      // 000000002C0C: 802E3480
	s_add_u32 s47, 0x1080, s46                                 // 000000002C10: 802F2EFF 00001080
	v_and_b32_e32 v4, 15, v0                                   // 000000002C18: 2608008F
	v_lshrrev_b32_e32 v5, 3, v4                                // 000000002C1C: 200A0883
	v_mul_i32_i24_e32 v5, 2, v5                                // 000000002C20: 0C0A0A82
	v_and_b32_e32 v4, 3, v0                                    // 000000002C24: 26080083
	v_lshrrev_b32_e32 v6, 1, v4                                // 000000002C28: 200C0881
	v_add_u32_e32 v4, v5, v6                                   // 000000002C2C: 68080D05
	v_mul_i32_i24_e32 v2, 0x420, v4                            // 000000002C30: 0C0408FF 00000420
	v_and_b32_e32 v4, 7, v0                                    // 000000002C38: 26080087
	v_lshrrev_b32_e32 v5, 2, v4                                // 000000002C3C: 200A0882
	v_mul_i32_i24_e32 v5, 0x100, v5                            // 000000002C40: 0C0A0AFF 00000100
	v_and_b32_e32 v4, 1, v0                                    // 000000002C48: 26080081
	v_mul_i32_i24_e32 v6, 0x80, v4                             // 000000002C4C: 0C0C08FF 00000080
	v_add_u32_e32 v2, v5, v2                                   // 000000002C54: 68040505
	v_add_u32_e32 v2, v6, v2                                   // 000000002C58: 68040506
	v_lshrrev_b32_e32 v4, 4, v0                                // 000000002C5C: 20080084
	v_mul_i32_i24_e32 v4, 16, v4                               // 000000002C60: 0C080890
	v_add_u32_e32 v2, v4, v2                                   // 000000002C64: 68040504
	s_waitcnt lgkmcnt(0)                                       // 000000002C68: BF8CC07F
	s_mul_i32 s52, s2, 0x100                                   // 000000002C6C: 9234FF02 00000100
	s_mul_i32 s52, s52, s65                                    // 000000002C74: 92344134
	s_add_u32 s24, s52, s24                                    // 000000002C78: 80181834
	s_addc_u32 s25, 0, s25                                     // 000000002C7C: 82191980
	s_lshr_b32 s52, s60, s74                                   // 000000002C80: 8F344A3C
	s_mul_i32 s52, s4, s52                                     // 000000002C84: 92343404
	s_lshr_b32 s52, s52, 7                                     // 000000002C88: 8F348734
	s_mul_i32 s52, s52, 0x800                                  // 000000002C8C: 9234FF34 00000800
	s_add_u32 s24, s52, s24                                    // 000000002C94: 80181834
	s_addc_u32 s25, 0, s25                                     // 000000002C98: 82191980
	s_lshr_b32 s52, s65, s74                                   // 000000002C9C: 8F344A41
	s_mul_i32 s52, s4, s52                                     // 000000002CA0: 92343404
	s_add_u32 s20, s52, s20                                    // 000000002CA4: 80141434
	s_addc_u32 s21, 0, s21                                     // 000000002CA8: 82151580
	s_mul_i32 s52, s7, 16                                      // 000000002CAC: 92349007
	s_mul_i32 s52, s52, s65                                    // 000000002CB0: 92344134
	v_lshlrev_b32_e32 v33, 4, v0                               // 000000002CB4: 24420084
	v_add_u32_e32 v33, s52, v33                                // 000000002CB8: 68424234
	s_mul_i32 s52, 64, s65                                     // 000000002CBC: 923441C0
	v_add_u32_e32 v34, s52, v33                                // 000000002CC0: 68444234
	s_mov_b32 s76, s24                                         // 000000002CC4: BECC0018
	s_mov_b32 s77, s25                                         // 000000002CC8: BECD0019
	s_mov_b32 s78, s26                                         // 000000002CCC: BECE001A
	s_mov_b32 s79, s27                                         // 000000002CD0: BECF001B
	s_lshl_b32 s52, s65, 7                                     // 000000002CD4: 8E348741
	s_add_u32 s76, s52, s76                                    // 000000002CD8: 804C4C34
	s_addc_u32 s77, 0, s77                                     // 000000002CDC: 824D4D80
	s_lshr_b32 s52, s60, 7                                     // 000000002CE0: 8F34873C
	s_mul_i32 s53, s52, 4                                      // 000000002CE4: 92358434
	v_and_b32_e32 v18, 0, v0                                   // 000000002CE8: 26240080
	v_mul_lo_u32 v18, v18, s53                                 // 000000002CEC: D2850012 00006B12
	s_lshr_b32 s52, s60, 7                                     // 000000002CF4: 8F34873C
	s_mul_i32 s52, s52, 4                                      // 000000002CF8: 92348434
	v_add_u32_e64 v19, v18, s52                                // 000000002CFC: D1340013 00006912
	s_mul_i32 s52, s2, 2                                       // 000000002D04: 92348202
	s_mul_i32 s52, s52, s53                                    // 000000002D08: 92343534
	s_add_u32 s32, s52, s32                                    // 000000002D0C: 80202034
	s_addc_u32 s33, 0, s33                                     // 000000002D10: 82212180
	s_lshr_b32 s52, s60, 7                                     // 000000002D14: 8F34873C
	s_lshr_b32 s52, s52, s74                                   // 000000002D18: 8F344A34
	s_mul_i32 s52, s4, s52                                     // 000000002D1C: 92343404
	s_mul_i32 s53, s52, 4                                      // 000000002D20: 92358434
	s_add_u32 s32, s53, s32                                    // 000000002D24: 80202035
	s_addc_u32 s33, 0, s33                                     // 000000002D28: 82212180
	s_lshl_b32 s54, s62, 2                                     // 000000002D2C: 8E36823E
	s_mul_i32 s54, s52, s54                                    // 000000002D30: 92363634
	s_add_u32 s28, s54, s28                                    // 000000002D34: 801C1C36
	s_addc_u32 s29, 0, s29                                     // 000000002D38: 821D1D80
	s_mov_b32 s4, 4                                            // 000000002D3C: BE840084
	s_mov_b32 s57, 0x80                                        // 000000002D40: BEB900FF 00000080
	s_mov_b32 s58, 0x800                                       // 000000002D48: BEBA00FF 00000800
	s_lshl_b32 s73, s65, 7                                     // 000000002D50: 8E498741
	s_mov_b32 m0, s46                                          // 000000002D54: BEFC002E
	s_waitcnt vmcnt(0) expcnt(0) lgkmcnt(0)                    // 000000002D58: BF8C0000
	s_mov_b32 s54, -1                                          // 000000002D5C: BEB600C1
	s_mov_b32 s55, -1                                          // 000000002D60: BEB700C1
	s_mov_b32 s16, 0                                           // 000000002D64: BE900080
	s_mov_b32 s17, 0                                           // 000000002D68: BE910080
	v_readlane_b32 s72, v35, 0                                 // 000000002D6C: D2890048 00010123
	s_mul_i32 s52, s72, s64                                    // 000000002D74: 92344048
	s_lshl_b32 s16, 0xff, 0                                    // 000000002D78: 8E1080FF 000000FF
	s_mov_b32 s17, 0                                           // 000000002D80: BE910080
	s_mov_b64 exec, s[16:17]                                   // 000000002D84: BEFE0110
	v_mov_b32_e32 v32, s52                                     // 000000002D88: 7E400234
	s_mov_b64 exec, s[54:55]                                   // 000000002D8C: BEFE0136
	v_readlane_b32 s72, v35, 1                                 // 000000002D90: D2890048 00010323
	s_mul_i32 s52, s72, s64                                    // 000000002D98: 92344048
	s_lshl_b32 s16, 0xff, 8                                    // 000000002D9C: 8E1088FF 000000FF
	s_mov_b64 exec, s[16:17]                                   // 000000002DA4: BEFE0110
	v_mov_b32_e32 v32, s52                                     // 000000002DA8: 7E400234
	s_mov_b64 exec, s[54:55]                                   // 000000002DAC: BEFE0136
	v_readlane_b32 s72, v35, 2                                 // 000000002DB0: D2890048 00010523
	s_mul_i32 s52, s72, s64                                    // 000000002DB8: 92344048
	s_lshl_b32 s16, 0xff, 16                                   // 000000002DBC: 8E1090FF 000000FF
	s_mov_b64 exec, s[16:17]                                   // 000000002DC4: BEFE0110
	v_mov_b32_e32 v32, s52                                     // 000000002DC8: 7E400234
	s_mov_b64 exec, s[54:55]                                   // 000000002DCC: BEFE0136
	v_readlane_b32 s72, v35, 3                                 // 000000002DD0: D2890048 00010723
	s_mul_i32 s52, s72, s64                                    // 000000002DD8: 92344048
	s_lshl_b32 s16, 0xff, 24                                   // 000000002DDC: 8E1098FF 000000FF
	s_mov_b64 exec, s[16:17]                                   // 000000002DE4: BEFE0110
	v_mov_b32_e32 v32, s52                                     // 000000002DE8: 7E400234
	s_mov_b64 exec, s[54:55]                                   // 000000002DEC: BEFE0136
	v_readlane_b32 s72, v35, 4                                 // 000000002DF0: D2890048 00010923
	s_mul_i32 s52, s72, s64                                    // 000000002DF8: 92344048
	s_lshl_b32 s17, 0xff, 0                                    // 000000002DFC: 8E1180FF 000000FF
	s_mov_b32 s16, 0                                           // 000000002E04: BE900080
	s_mov_b64 exec, s[16:17]                                   // 000000002E08: BEFE0110
	v_mov_b32_e32 v32, s52                                     // 000000002E0C: 7E400234
	s_mov_b64 exec, s[54:55]                                   // 000000002E10: BEFE0136
	v_readlane_b32 s72, v35, 5                                 // 000000002E14: D2890048 00010B23
	s_mul_i32 s52, s72, s64                                    // 000000002E1C: 92344048
	s_lshl_b32 s17, 0xff, 8                                    // 000000002E20: 8E1188FF 000000FF
	s_mov_b64 exec, s[16:17]                                   // 000000002E28: BEFE0110
	v_mov_b32_e32 v32, s52                                     // 000000002E2C: 7E400234
	s_mov_b64 exec, s[54:55]                                   // 000000002E30: BEFE0136
	v_readlane_b32 s72, v35, 6                                 // 000000002E34: D2890048 00010D23
	s_mul_i32 s52, s72, s64                                    // 000000002E3C: 92344048
	s_lshl_b32 s17, 0xff, 16                                   // 000000002E40: 8E1190FF 000000FF
	s_mov_b64 exec, s[16:17]                                   // 000000002E48: BEFE0110
	v_mov_b32_e32 v32, s52                                     // 000000002E4C: 7E400234
	s_mov_b64 exec, s[54:55]                                   // 000000002E50: BEFE0136
	v_readlane_b32 s72, v35, 7                                 // 000000002E54: D2890048 00010F23
	s_mul_i32 s52, s72, s64                                    // 000000002E5C: 92344048
	s_lshl_b32 s17, 0xff, 24                                   // 000000002E60: 8E1198FF 000000FF
	s_mov_b64 exec, s[16:17]                                   // 000000002E68: BEFE0110
	v_mov_b32_e32 v32, s52                                     // 000000002E6C: 7E400234
	s_mov_b64 exec, s[54:55]                                   // 000000002E70: BEFE0136
	v_and_b32_e64 v4, v0, 7                                    // 000000002E74: D1130004 00010F00
	v_lshlrev_b32_e32 v4, 4, v4                                // 000000002E7C: 24080884
	v_add_u32_e32 v32, v32, v4                                 // 000000002E80: 68400920
	v_lshlrev_b32_e32 v24, 2, v24                              // 000000002E84: 24303082
	v_lshlrev_b32_e32 v25, 2, v25                              // 000000002E88: 24323282
	s_lshl_b32 s6, s62, 2                                      // 000000002E8C: 8E06823E
	buffer_load_dwordx4 v32, s[20:23], 0 offen lds             // 000000002E90: E05D1000 80050020
	s_add_u32 m0, 0, s47                                       // 000000002E98: 807C2F80
	s_add_u32 s20, s57, s20                                    // 000000002E9C: 80141439
	s_addc_u32 s21, 0, s21                                     // 000000002EA0: 82151580
	buffer_load_dword v26, v24, s[28:31], 0 offen              // 000000002EA4: E0501000 80071A18
	buffer_load_dword v27, v25, s[28:31], 0 offen              // 000000002EAC: E0501000 80071B19
	s_add_u32 s28, s6, s28                                     // 000000002EB4: 801C1C06
	s_addc_u32 s29, 0, s29                                     // 000000002EB8: 821D1D80
	buffer_load_dwordx4 v32, s[20:23], 0 offen lds             // 000000002EBC: E05D1000 80050020
	s_add_u32 m0, 0, s46                                       // 000000002EC4: 807C2E80
	s_add_u32 s20, s57, s20                                    // 000000002EC8: 80141439
	s_addc_u32 s21, 0, s21                                     // 000000002ECC: 82151580
	buffer_load_dword v28, v24, s[28:31], 0 offen              // 000000002ED0: E0501000 80071C18
	buffer_load_dword v29, v25, s[28:31], 0 offen              // 000000002ED8: E0501000 80071D19
	s_add_u32 s28, s6, s28                                     // 000000002EE0: 801C1C06
	s_addc_u32 s29, 0, s29                                     // 000000002EE4: 821D1D80
	buffer_load_dword v20, v18, s[32:35], 0 offen              // 000000002EE8: E0501000 80081412
	buffer_load_dwordx4 a[32:35], v33, s[24:27], 0 offen       // 000000002EF0: E05C1000 80862021
	buffer_load_dwordx4 a[36:39], v33, s[24:27], 0 offen offset:1024// 000000002EF8: E05C1400 80862421
	buffer_load_dwordx4 a[40:43], v34, s[24:27], 0 offen       // 000000002F00: E05C1000 80862822
	buffer_load_dwordx4 a[44:47], v34, s[24:27], 0 offen offset:1024// 000000002F08: E05C1400 80862C22
	s_add_u32 s24, s58, s24                                    // 000000002F10: 8018183A
	s_addc_u32 s25, 0, s25                                     // 000000002F14: 82191980
	s_waitcnt vmcnt(10)                                        // 000000002F18: BF8C0F7A
	s_barrier                                                  // 000000002F1C: BF8A0000
	ds_read_b128 a[0:3], v2                                    // 000000002F20: DBFE0000 00000002
	ds_read_b128 a[4:7], v2 offset:64                          // 000000002F28: DBFE0040 04000002
	ds_read_b128 a[8:11], v2 offset:512                        // 000000002F30: DBFE0200 08000002
	ds_read_b128 a[12:15], v2 offset:576                       // 000000002F38: DBFE0240 0C000002
	s_cmp_lt_i32 s7, 2                                         // 000000002F40: BF048207
	s_cbranch_scc0 label_05CA                                  // 000000002F44: BF840435

0000000000002f48 <label_0192>:
	s_waitcnt vmcnt(2) lgkmcnt(0)                              // 000000002F48: BF8C0072
	s_barrier                                                  // 000000002F4C: BF8A0000
	v_mov_b32_e32 v30, v26                                     // 000000002F50: 7E3C031A
	v_mov_b32_e32 v31, v27                                     // 000000002F54: 7E3E031B
	v_mul_f32_dpp v4, v20, v30 row_newbcast:0 row_mask:0xf bank_mask:0xf// 000000002F58: 0A083CFA FF015014
	v_mfma_f32_16x16x128_f8f6f4 v[8:11], a[32:39], a[0:7], 0   // 000000002F60: D3AD0008 1A020120
	buffer_load_dword v23, v19, s[32:35], 0 offen              // 000000002F68: E0501000 80081713
	v_mul_f32_dpp v6, v20, v31 row_newbcast:0 row_mask:0xf bank_mask:0xf// 000000002F70: 0A0C3EFA FF015014
	v_mfma_f32_16x16x128_f8f6f4 v[12:15], a[32:39], a[8:15], 0 // 000000002F78: D3AD000C 1A021120
	buffer_load_dwordx4 a[48:51], v33, s[76:79], 0 offen       // 000000002F80: E05C1000 80933021
	s_nop 5                                                    // 000000002F88: BF800005
	v_fma_f32 v36, v8, v4, v36                                 // 000000002F8C: D1CB0024 04920908
	v_fma_f32 v37, v9, v4, v37                                 // 000000002F94: D1CB0025 04960909
	v_fma_f32 v38, v10, v4, v38                                // 000000002F9C: D1CB0026 049A090A
	v_fma_f32 v39, v11, v4, v39                                // 000000002FA4: D1CB0027 049E090B
	s_waitcnt vmcnt(2)                                         // 000000002FAC: BF8C0F72
	v_mul_f32_dpp v4, v20, v30 row_newbcast:0 row_mask:0xf bank_mask:0xf// 000000002FB0: 0A083CFA FF015014
	v_mfma_f32_16x16x128_f8f6f4 v[8:11], a[40:47], a[0:7], 0   // 000000002FB8: D3AD0008 1A020128
	s_add_u32 s52, 0x80, s70                                   // 000000002FC0: 803446FF 00000080
	s_cmp_lt_u32 s52, s71                                      // 000000002FC8: BF0A4734
	s_cselect_b32 s73, s73, 0                                  // 000000002FCC: 85498049
	s_cselect_b32 s4, s4, 0                                    // 000000002FD0: 85048004
	s_nop 5                                                    // 000000002FD4: BF800005
	v_fma_f32 v40, v12, v6, v40                                // 000000002FD8: D1CB0028 04A20D0C
	v_fma_f32 v41, v13, v6, v41                                // 000000002FE0: D1CB0029 04A60D0D
	v_fma_f32 v42, v14, v6, v42                                // 000000002FE8: D1CB002A 04AA0D0E
	v_fma_f32 v43, v15, v6, v43                                // 000000002FF0: D1CB002B 04AE0D0F
	v_mul_f32_dpp v6, v20, v31 row_newbcast:0 row_mask:0xf bank_mask:0xf// 000000002FF8: 0A0C3EFA FF015014
	v_mfma_f32_16x16x128_f8f6f4 v[12:15], a[40:47], a[8:15], 0 // 000000003000: D3AD000C 1A021128
	buffer_load_dwordx4 a[52:55], v33, s[76:79], 0 offen offset:1024// 000000003008: E05C1400 80933421
	s_add_u32 s32, s4, s32                                     // 000000003010: 80202004
	s_addc_u32 s33, 0, s33                                     // 000000003014: 82212180
	s_nop 5                                                    // 000000003018: BF800005
	v_fma_f32 v44, v8, v4, v44                                 // 00000000301C: D1CB002C 04B20908
	v_fma_f32 v45, v9, v4, v45                                 // 000000003024: D1CB002D 04B60909
	v_fma_f32 v46, v10, v4, v46                                // 00000000302C: D1CB002E 04BA090A
	v_fma_f32 v47, v11, v4, v47                                // 000000003034: D1CB002F 04BE090B
	s_nop 5                                                    // 00000000303C: BF800005
	v_fma_f32 v48, v12, v6, v48                                // 000000003040: D1CB0030 04C20D0C
	v_fma_f32 v49, v13, v6, v49                                // 000000003048: D1CB0031 04C60D0D
	v_fma_f32 v50, v14, v6, v50                                // 000000003050: D1CB0032 04CA0D0E
	v_fma_f32 v51, v15, v6, v51                                // 000000003058: D1CB0033 04CE0D0F
	buffer_load_dwordx4 a[56:59], v34, s[76:79], 0 offen       // 000000003060: E05C1000 80933822
	buffer_load_dwordx4 a[60:63], v34, s[76:79], 0 offen offset:1024// 000000003068: E05C1400 80933C22
	buffer_load_dwordx4 v32, s[20:23], 0 offen lds             // 000000003070: E05D1000 80050020
	s_add_u32 m0, 0, s47                                       // 000000003078: 807C2F80
	buffer_load_dword v26, v24, s[28:31], 0 offen              // 00000000307C: E0501000 80071A18
	buffer_load_dword v27, v25, s[28:31], 0 offen              // 000000003084: E0501000 80071B19
	s_waitcnt vmcnt(3)                                         // 00000000308C: BF8C0F73
	v_mul_f32_dpp v4, v23, v30 row_newbcast:0 row_mask:0xf bank_mask:0xf// 000000003090: 0A083CFA FF015017
	v_mfma_f32_16x16x128_f8f6f4 v[8:11], a[48:55], a[0:7], 0   // 000000003098: D3AD0008 1A020130
	buffer_load_dword v20, v18, s[32:35], 0 offen              // 0000000030A0: E0501000 80081412
	ds_read_b128 a[16:19], v2 offset:4224                      // 0000000030A8: DBFE1080 10000002
	ds_read_b128 a[20:23], v2 offset:4288                      // 0000000030B0: DBFE10C0 14000002
	s_add_u32 s76, s73, s24                                    // 0000000030B8: 804C1849
	s_addc_u32 s77, 0, s77                                     // 0000000030BC: 824D4D80
	v_mfma_f32_16x16x128_f8f6f4 v[12:15], a[56:63], a[0:7], 0  // 0000000030C0: D3AD000C 1A020138
	buffer_load_dwordx4 a[32:35], v33, s[24:27], 0 offen       // 0000000030C8: E05C1000 80862021
	s_add_u32 s52, 0x180, s70                                  // 0000000030D0: 803446FF 00000180
	s_cmp_lt_u32 s52, s71                                      // 0000000030D8: BF0A4734
	s_cselect_b32 s57, s57, 0                                  // 0000000030DC: 85398039
	s_cselect_b32 s6, s6, 0                                    // 0000000030E0: 85068006
	s_nop 5                                                    // 0000000030E4: BF800005
	v_fma_f32 v52, v8, v4, v52                                 // 0000000030E8: D1CB0034 04D20908
	v_fma_f32 v53, v9, v4, v53                                 // 0000000030F0: D1CB0035 04D60909
	v_fma_f32 v54, v10, v4, v54                                // 0000000030F8: D1CB0036 04DA090A
	v_fma_f32 v55, v11, v4, v55                                // 000000003100: D1CB0037 04DE090B
	v_mul_f32_dpp v6, v23, v31 row_newbcast:0 row_mask:0xf bank_mask:0xf// 000000003108: 0A0C3EFA FF015017
	v_mfma_f32_16x16x128_f8f6f4 v[8:11], a[48:55], a[8:15], 0  // 000000003110: D3AD0008 1A021130
	ds_read_b128 a[24:27], v2 offset:4736                      // 000000003118: DBFE1280 18000002
	ds_read_b128 a[28:31], v2 offset:4800                      // 000000003120: DBFE12C0 1C000002
	s_add_u32 s20, s57, s20                                    // 000000003128: 80141439
	s_addc_u32 s21, 0, s21                                     // 00000000312C: 82151580
	s_add_u32 s28, s6, s28                                     // 000000003130: 801C1C06
	s_addc_u32 s29, 0, s29                                     // 000000003134: 821D1D80
	s_nop 5                                                    // 000000003138: BF800005
	v_fma_f32 v60, v12, v4, v60                                // 00000000313C: D1CB003C 04F2090C
	v_fma_f32 v61, v13, v4, v61                                // 000000003144: D1CB003D 04F6090D
	v_fma_f32 v62, v14, v4, v62                                // 00000000314C: D1CB003E 04FA090E
	v_fma_f32 v63, v15, v4, v63                                // 000000003154: D1CB003F 04FE090F
	v_mfma_f32_16x16x128_f8f6f4 v[12:15], a[56:63], a[8:15], 0 // 00000000315C: D3AD000C 1A021138
	buffer_load_dwordx4 a[36:39], v33, s[24:27], 0 offen offset:1024// 000000003164: E05C1400 80862421
	s_nop 5                                                    // 00000000316C: BF800005
	v_fma_f32 v56, v8, v6, v56                                 // 000000003170: D1CB0038 04E20D08
	v_fma_f32 v57, v9, v6, v57                                 // 000000003178: D1CB0039 04E60D09
	v_fma_f32 v58, v10, v6, v58                                // 000000003180: D1CB003A 04EA0D0A
	v_fma_f32 v59, v11, v6, v59                                // 000000003188: D1CB003B 04EE0D0B
	s_nop 5                                                    // 000000003190: BF800005
	v_fma_f32 v64, v12, v6, v64                                // 000000003194: D1CB0040 05020D0C
	v_fma_f32 v65, v13, v6, v65                                // 00000000319C: D1CB0041 05060D0D
	v_fma_f32 v66, v14, v6, v66                                // 0000000031A4: D1CB0042 050A0D0E
	v_fma_f32 v67, v15, v6, v67                                // 0000000031AC: D1CB0043 050E0D0F
	buffer_load_dwordx4 a[40:43], v34, s[24:27], 0 offen       // 0000000031B4: E05C1000 80862822
	buffer_load_dwordx4 a[44:47], v34, s[24:27], 0 offen offset:1024// 0000000031BC: E05C1400 80862C22
	s_add_u32 s52, 0x100, s70                                  // 0000000031C4: 803446FF 00000100
	s_cmp_lt_u32 s52, s71                                      // 0000000031CC: BF0A4734
	s_cselect_b32 s58, s58, 0                                  // 0000000031D0: 853A803A
	s_add_u32 s24, s58, s24                                    // 0000000031D4: 8018183A
	s_addc_u32 s25, 0, s25                                     // 0000000031D8: 82191980
	s_addk_i32 s70, 0x80                                       // 0000000031DC: B7460080
	s_cmp_lt_i32 s70, s71                                      // 0000000031E0: BF044746
	s_cbranch_scc0 label_02E3                                  // 0000000031E4: BF8400A9
	s_waitcnt vmcnt(2) lgkmcnt(0)                              // 0000000031E8: BF8C0072
	s_barrier                                                  // 0000000031EC: BF8A0000
	v_mov_b32_e32 v30, v28                                     // 0000000031F0: 7E3C031C
	v_mov_b32_e32 v31, v29                                     // 0000000031F4: 7E3E031D
	v_mul_f32_dpp v4, v20, v30 row_newbcast:0 row_mask:0xf bank_mask:0xf// 0000000031F8: 0A083CFA FF015014
	v_mfma_f32_16x16x128_f8f6f4 v[8:11], a[32:39], a[16:23], 0 // 000000003200: D3AD0008 1A022120
	buffer_load_dword v23, v19, s[32:35], 0 offen              // 000000003208: E0501000 80081713
	v_mul_f32_dpp v6, v20, v31 row_newbcast:0 row_mask:0xf bank_mask:0xf// 000000003210: 0A0C3EFA FF015014
	v_mfma_f32_16x16x128_f8f6f4 v[12:15], a[32:39], a[24:31], 0// 000000003218: D3AD000C 1A023120
	buffer_load_dwordx4 a[48:51], v33, s[76:79], 0 offen       // 000000003220: E05C1000 80933021
	s_nop 5                                                    // 000000003228: BF800005
	v_fma_f32 v36, v8, v4, v36                                 // 00000000322C: D1CB0024 04920908
	v_fma_f32 v37, v9, v4, v37                                 // 000000003234: D1CB0025 04960909
	v_fma_f32 v38, v10, v4, v38                                // 00000000323C: D1CB0026 049A090A
	v_fma_f32 v39, v11, v4, v39                                // 000000003244: D1CB0027 049E090B
	s_waitcnt vmcnt(2)                                         // 00000000324C: BF8C0F72
	v_mul_f32_dpp v4, v20, v30 row_newbcast:0 row_mask:0xf bank_mask:0xf// 000000003250: 0A083CFA FF015014
	v_mfma_f32_16x16x128_f8f6f4 v[8:11], a[40:47], a[16:23], 0 // 000000003258: D3AD0008 1A022128
	s_add_u32 s52, 0x80, s70                                   // 000000003260: 803446FF 00000080
	s_cmp_lt_u32 s52, s71                                      // 000000003268: BF0A4734
	s_cselect_b32 s73, s73, 0                                  // 00000000326C: 85498049
	s_cselect_b32 s4, s4, 0                                    // 000000003270: 85048004
	s_nop 5                                                    // 000000003274: BF800005
	v_fma_f32 v40, v12, v6, v40                                // 000000003278: D1CB0028 04A20D0C
	v_fma_f32 v41, v13, v6, v41                                // 000000003280: D1CB0029 04A60D0D
	v_fma_f32 v42, v14, v6, v42                                // 000000003288: D1CB002A 04AA0D0E
	v_fma_f32 v43, v15, v6, v43                                // 000000003290: D1CB002B 04AE0D0F
	v_mul_f32_dpp v6, v20, v31 row_newbcast:0 row_mask:0xf bank_mask:0xf// 000000003298: 0A0C3EFA FF015014
	v_mfma_f32_16x16x128_f8f6f4 v[12:15], a[40:47], a[24:31], 0// 0000000032A0: D3AD000C 1A023128
	buffer_load_dwordx4 a[52:55], v33, s[76:79], 0 offen offset:1024// 0000000032A8: E05C1400 80933421
	s_add_u32 s32, s4, s32                                     // 0000000032B0: 80202004
	s_addc_u32 s33, 0, s33                                     // 0000000032B4: 82212180
	s_nop 5                                                    // 0000000032B8: BF800005
	v_fma_f32 v44, v8, v4, v44                                 // 0000000032BC: D1CB002C 04B20908
	v_fma_f32 v45, v9, v4, v45                                 // 0000000032C4: D1CB002D 04B60909
	v_fma_f32 v46, v10, v4, v46                                // 0000000032CC: D1CB002E 04BA090A
	v_fma_f32 v47, v11, v4, v47                                // 0000000032D4: D1CB002F 04BE090B
	s_nop 5                                                    // 0000000032DC: BF800005
	v_fma_f32 v48, v12, v6, v48                                // 0000000032E0: D1CB0030 04C20D0C
	v_fma_f32 v49, v13, v6, v49                                // 0000000032E8: D1CB0031 04C60D0D
	v_fma_f32 v50, v14, v6, v50                                // 0000000032F0: D1CB0032 04CA0D0E
	v_fma_f32 v51, v15, v6, v51                                // 0000000032F8: D1CB0033 04CE0D0F
	buffer_load_dwordx4 a[56:59], v34, s[76:79], 0 offen       // 000000003300: E05C1000 80933822
	buffer_load_dwordx4 a[60:63], v34, s[76:79], 0 offen offset:1024// 000000003308: E05C1400 80933C22
	buffer_load_dwordx4 v32, s[20:23], 0 offen lds             // 000000003310: E05D1000 80050020
	s_add_u32 m0, 0, s46                                       // 000000003318: 807C2E80
	buffer_load_dword v28, v24, s[28:31], 0 offen              // 00000000331C: E0501000 80071C18
	buffer_load_dword v29, v25, s[28:31], 0 offen              // 000000003324: E0501000 80071D19
	s_waitcnt vmcnt(3)                                         // 00000000332C: BF8C0F73
	v_mul_f32_dpp v4, v23, v30 row_newbcast:0 row_mask:0xf bank_mask:0xf// 000000003330: 0A083CFA FF015017
	v_mfma_f32_16x16x128_f8f6f4 v[8:11], a[48:55], a[16:23], 0 // 000000003338: D3AD0008 1A022130
	buffer_load_dword v20, v18, s[32:35], 0 offen              // 000000003340: E0501000 80081412
	ds_read_b128 a[0:3], v2                                    // 000000003348: DBFE0000 00000002
	ds_read_b128 a[4:7], v2 offset:64                          // 000000003350: DBFE0040 04000002
	s_add_u32 s76, s73, s24                                    // 000000003358: 804C1849
	s_addc_u32 s77, 0, s77                                     // 00000000335C: 824D4D80
	v_mfma_f32_16x16x128_f8f6f4 v[12:15], a[56:63], a[16:23], 0// 000000003360: D3AD000C 1A022138
	buffer_load_dwordx4 a[32:35], v33, s[24:27], 0 offen       // 000000003368: E05C1000 80862021
	s_add_u32 s52, 0x180, s70                                  // 000000003370: 803446FF 00000180
	s_cmp_lt_u32 s52, s71                                      // 000000003378: BF0A4734
	s_cselect_b32 s57, s57, 0                                  // 00000000337C: 85398039
	s_cselect_b32 s6, s6, 0                                    // 000000003380: 85068006
	s_nop 5                                                    // 000000003384: BF800005
	v_fma_f32 v52, v8, v4, v52                                 // 000000003388: D1CB0034 04D20908
	v_fma_f32 v53, v9, v4, v53                                 // 000000003390: D1CB0035 04D60909
	v_fma_f32 v54, v10, v4, v54                                // 000000003398: D1CB0036 04DA090A
	v_fma_f32 v55, v11, v4, v55                                // 0000000033A0: D1CB0037 04DE090B
	v_mul_f32_dpp v6, v23, v31 row_newbcast:0 row_mask:0xf bank_mask:0xf// 0000000033A8: 0A0C3EFA FF015017
	v_mfma_f32_16x16x128_f8f6f4 v[8:11], a[48:55], a[24:31], 0 // 0000000033B0: D3AD0008 1A023130
	ds_read_b128 a[8:11], v2 offset:512                        // 0000000033B8: DBFE0200 08000002
	ds_read_b128 a[12:15], v2 offset:576                       // 0000000033C0: DBFE0240 0C000002
	s_add_u32 s20, s57, s20                                    // 0000000033C8: 80141439
	s_addc_u32 s21, 0, s21                                     // 0000000033CC: 82151580
	s_add_u32 s28, s6, s28                                     // 0000000033D0: 801C1C06
	s_addc_u32 s29, 0, s29                                     // 0000000033D4: 821D1D80
	s_nop 5                                                    // 0000000033D8: BF800005
	v_fma_f32 v60, v12, v4, v60                                // 0000000033DC: D1CB003C 04F2090C
	v_fma_f32 v61, v13, v4, v61                                // 0000000033E4: D1CB003D 04F6090D
	v_fma_f32 v62, v14, v4, v62                                // 0000000033EC: D1CB003E 04FA090E
	v_fma_f32 v63, v15, v4, v63                                // 0000000033F4: D1CB003F 04FE090F
	v_mfma_f32_16x16x128_f8f6f4 v[12:15], a[56:63], a[24:31], 0// 0000000033FC: D3AD000C 1A023138
	buffer_load_dwordx4 a[36:39], v33, s[24:27], 0 offen offset:1024// 000000003404: E05C1400 80862421
	s_nop 5                                                    // 00000000340C: BF800005
	v_fma_f32 v56, v8, v6, v56                                 // 000000003410: D1CB0038 04E20D08
	v_fma_f32 v57, v9, v6, v57                                 // 000000003418: D1CB0039 04E60D09
	v_fma_f32 v58, v10, v6, v58                                // 000000003420: D1CB003A 04EA0D0A
	v_fma_f32 v59, v11, v6, v59                                // 000000003428: D1CB003B 04EE0D0B
	s_nop 5                                                    // 000000003430: BF800005
	v_fma_f32 v64, v12, v6, v64                                // 000000003434: D1CB0040 05020D0C
	v_fma_f32 v65, v13, v6, v65                                // 00000000343C: D1CB0041 05060D0D
	v_fma_f32 v66, v14, v6, v66                                // 000000003444: D1CB0042 050A0D0E
	v_fma_f32 v67, v15, v6, v67                                // 00000000344C: D1CB0043 050E0D0F
	buffer_load_dwordx4 a[40:43], v34, s[24:27], 0 offen       // 000000003454: E05C1000 80862822
	buffer_load_dwordx4 a[44:47], v34, s[24:27], 0 offen offset:1024// 00000000345C: E05C1400 80862C22
	s_add_u32 s52, 0x100, s70                                  // 000000003464: 803446FF 00000100
	s_cmp_lt_u32 s52, s71                                      // 00000000346C: BF0A4734
	s_cselect_b32 s58, s58, 0                                  // 000000003470: 853A803A
	s_add_u32 s24, s58, s24                                    // 000000003474: 8018183A
	s_addc_u32 s25, 0, s25                                     // 000000003478: 82191980
	s_addk_i32 s70, 0x80                                       // 00000000347C: B7460080
	s_cmp_lt_i32 s70, s71                                      // 000000003480: BF044746
	s_cbranch_scc0 label_02E3                                  // 000000003484: BF840001
	s_branch label_0192                                        // 000000003488: BF82FEAF

000000000000348c <label_02E3>:
	s_cmp_eq_u32 s74, 0                                        // 00000000348C: BF06804A
	s_cbranch_scc0 label_040D                                  // 000000003490: BF840128
	v_cvt_pk_bf16_f32 v36, v36, v37                            // 000000003494: D2680024 00024B24
	v_cvt_pk_bf16_f32 v37, v38, v39                            // 00000000349C: D2680025 00024F26
	v_cvt_pk_bf16_f32 v38, v40, v41                            // 0000000034A4: D2680026 00025328
	v_cvt_pk_bf16_f32 v39, v42, v43                            // 0000000034AC: D2680027 0002572A
	v_cvt_pk_bf16_f32 v40, v44, v45                            // 0000000034B4: D2680028 00025B2C
	v_cvt_pk_bf16_f32 v41, v46, v47                            // 0000000034BC: D2680029 00025F2E
	v_cvt_pk_bf16_f32 v42, v48, v49                            // 0000000034C4: D268002A 00026330
	v_cvt_pk_bf16_f32 v43, v50, v51                            // 0000000034CC: D268002B 00026732
	ds_write_b64 v16, v[36:37]                                 // 0000000034D4: D89A0000 00002410
	ds_write_b64 v16, v[38:39] offset:4352                     // 0000000034DC: D89A1100 00002610
	ds_write_b64 v16, v[40:41] offset:2176                     // 0000000034E4: D89A0880 00002810
	ds_write_b64 v16, v[42:43] offset:6528                     // 0000000034EC: D89A1980 00002A10
	v_cvt_pk_bf16_f32 v52, v52, v53                            // 0000000034F4: D2680034 00026B34
	v_cvt_pk_bf16_f32 v53, v54, v55                            // 0000000034FC: D2680035 00026F36
	v_cvt_pk_bf16_f32 v54, v56, v57                            // 000000003504: D2680036 00027338
	v_cvt_pk_bf16_f32 v55, v58, v59                            // 00000000350C: D2680037 0002773A
	v_cvt_pk_bf16_f32 v56, v60, v61                            // 000000003514: D2680038 00027B3C
	v_cvt_pk_bf16_f32 v57, v62, v63                            // 00000000351C: D2680039 00027F3E
	v_cvt_pk_bf16_f32 v58, v64, v65                            // 000000003524: D268003A 00028340
	v_cvt_pk_bf16_f32 v59, v66, v67                            // 00000000352C: D268003B 00028742
	v_lshrrev_b32_e32 v4, 5, v0                                // 000000003534: 20080085
	v_xor_b32_e32 v5, 1, v4                                    // 000000003538: 2A0A0881
	s_mul_i32 s52, s61, 2                                      // 00000000353C: 9234823D
	s_cmp_eq_u32 s74, 0                                        // 000000003540: BF06804A
	s_cselect_b32 s53, 1, 4                                    // 000000003544: 85358481
	s_mul_i32 s52, s53, s52                                    // 000000003548: 92343435
	v_readlane_b32 s72, v3, 0                                  // 00000000354C: D2890048 00010103
	s_mul_i32 s72, s72, s66                                    // 000000003554: 92484248
	v_mul_lo_u32 v6, v5, s72                                   // 000000003558: D2850006 00009105
	v_readlane_b32 s72, v3, 1                                  // 000000003560: D2890048 00010303
	s_mul_i32 s72, s72, s66                                    // 000000003568: 92484248
	v_mul_lo_u32 v7, v4, s72                                   // 00000000356C: D2850007 00009104
	v_add_u32_e32 v44, v6, v7                                  // 000000003574: 68580F06
	v_readlane_b32 s72, v3, 2                                  // 000000003578: D2890048 00010503
	s_mul_i32 s72, s72, s66                                    // 000000003580: 92484248
	v_mul_lo_u32 v6, v5, s72                                   // 000000003584: D2850006 00009105
	v_readlane_b32 s72, v3, 3                                  // 00000000358C: D2890048 00010703
	s_mul_i32 s72, s72, s66                                    // 000000003594: 92484248
	v_mul_lo_u32 v7, v4, s72                                   // 000000003598: D2850007 00009104
	v_add_u32_e32 v45, v6, v7                                  // 0000000035A0: 685A0F06
	v_readlane_b32 s72, v3, 4                                  // 0000000035A4: D2890048 00010903
	s_mul_i32 s72, s72, s66                                    // 0000000035AC: 92484248
	v_mul_lo_u32 v6, v5, s72                                   // 0000000035B0: D2850006 00009105
	v_readlane_b32 s72, v3, 5                                  // 0000000035B8: D2890048 00010B03
	s_mul_i32 s72, s72, s66                                    // 0000000035C0: 92484248
	v_mul_lo_u32 v7, v4, s72                                   // 0000000035C4: D2850007 00009104
	v_add_u32_e32 v46, v6, v7                                  // 0000000035CC: 685C0F06
	v_readlane_b32 s72, v3, 6                                  // 0000000035D0: D2890048 00010D03
	s_mul_i32 s72, s72, s66                                    // 0000000035D8: 92484248
	v_mul_lo_u32 v6, v5, s72                                   // 0000000035DC: D2850006 00009105
	v_readlane_b32 s72, v3, 7                                  // 0000000035E4: D2890048 00010F03
	s_mul_i32 s72, s72, s66                                    // 0000000035EC: 92484248
	v_mul_lo_u32 v7, v4, s72                                   // 0000000035F0: D2850007 00009104
	v_add_u32_e32 v47, v6, v7                                  // 0000000035F8: 685E0F06
	v_and_b32_e32 v4, 31, v0                                   // 0000000035FC: 2608009F
	v_lshrrev_b32_e32 v4, 1, v4                                // 000000003600: 20080881
	s_cmp_eq_u32 s74, 0                                        // 000000003604: BF06804A
	s_cselect_b32 s53, 2, 4                                    // 000000003608: 85358482
	v_mul_lo_u32 v4, v4, s53                                   // 00000000360C: D2850004 00006B04
	v_and_b32_e64 v5, v0, 1                                    // 000000003614: D1130005 00010300
	v_add_u32_e32 v4, v4, v5                                   // 00000000361C: 68080B04
	v_lshlrev_b32_e32 v4, 2, v4                                // 000000003620: 24080882
	v_add_u32_e32 v44, v44, v4                                 // 000000003624: 6858092C
	v_add_u32_e32 v45, v45, v4                                 // 000000003628: 685A092D
	v_add_u32_e32 v46, v46, v4                                 // 00000000362C: 685C092E
	v_add_u32_e32 v47, v47, v4                                 // 000000003630: 685E092F
	s_waitcnt lgkmcnt(0)                                       // 000000003634: BF8CC07F
	s_barrier                                                  // 000000003638: BF8A0000
	ds_read_b32 v36, v17                                       // 00000000363C: D86C0000 24000011
	ds_read_b32 v37, v17 offset:64                             // 000000003644: D86C0040 25000011
	ds_read_b32 v38, v17 offset:2176                           // 00000000364C: D86C0880 26000011
	ds_read_b32 v39, v17 offset:2240                           // 000000003654: D86C08C0 27000011
	ds_read_b32 v40, v17 offset:4352                           // 00000000365C: D86C1100 28000011
	ds_read_b32 v41, v17 offset:4416                           // 000000003664: D86C1140 29000011
	ds_read_b32 v42, v17 offset:6528                           // 00000000366C: D86C1980 2A000011
	ds_read_b32 v43, v17 offset:6592                           // 000000003674: D86C19C0 2B000011
	s_waitcnt lgkmcnt(0)                                       // 00000000367C: BF8CC07F
	s_mov_b32 s16, -1                                          // 000000003680: BE9000C1
	s_mov_b32 s17, -1                                          // 000000003684: BE9100C1
	v_mov_b32_e32 v7, 0                                        // 000000003688: 7E0E0280
	s_or_b32 s9, s9, 0x40000                                   // 00000000368C: 8709FF09 00040000
	s_mov_b64 exec, s[16:17]                                   // 000000003694: BEFE0110
	v_mov_b32_e32 v6, v44                                      // 000000003698: 7E0C032C
	s_mov_b64 s[52:53], 0                                      // 00000000369C: BEB40180
	v_readlane_b32 s72, v3, 0                                  // 0000000036A0: D2890048 00010103
	s_cmp_lt_u32 s72, s62                                      // 0000000036A8: BF0A3E48
	s_cselect_b32 s20, s16, s52                                // 0000000036AC: 85143410
	v_readlane_b32 s72, v3, 1                                  // 0000000036B0: D2890048 00010303
	s_cmp_lt_u32 s72, s62                                      // 0000000036B8: BF0A3E48
	s_cselect_b32 s21, s16, s52                                // 0000000036BC: 85153410
	s_mov_b64 exec, s[20:21]                                   // 0000000036C0: BEFE0114
	buffer_store_dword v36, v6, s[8:11], 0 offen               // 0000000036C4: E0701000 80022406
	buffer_store_dword v38, v6, s[8:11], 0 offen offset:128    // 0000000036CC: E0701080 80022606
	s_mov_b64 exec, s[16:17]                                   // 0000000036D4: BEFE0110
	v_mov_b32_e32 v6, v45                                      // 0000000036D8: 7E0C032D
	s_mov_b64 s[52:53], 0                                      // 0000000036DC: BEB40180
	v_readlane_b32 s72, v3, 2                                  // 0000000036E0: D2890048 00010503
	s_cmp_lt_u32 s72, s62                                      // 0000000036E8: BF0A3E48
	s_cselect_b32 s20, s16, s52                                // 0000000036EC: 85143410
	v_readlane_b32 s72, v3, 3                                  // 0000000036F0: D2890048 00010703
	s_cmp_lt_u32 s72, s62                                      // 0000000036F8: BF0A3E48
	s_cselect_b32 s21, s16, s52                                // 0000000036FC: 85153410
	s_mov_b64 exec, s[20:21]                                   // 000000003700: BEFE0114
	buffer_store_dword v37, v6, s[8:11], 0 offen               // 000000003704: E0701000 80022506
	buffer_store_dword v39, v6, s[8:11], 0 offen offset:128    // 00000000370C: E0701080 80022706
	s_mov_b64 exec, s[16:17]                                   // 000000003714: BEFE0110
	v_mov_b32_e32 v6, v46                                      // 000000003718: 7E0C032E
	s_mov_b64 s[52:53], 0                                      // 00000000371C: BEB40180
	v_readlane_b32 s72, v3, 4                                  // 000000003720: D2890048 00010903
	s_cmp_lt_u32 s72, s62                                      // 000000003728: BF0A3E48
	s_cselect_b32 s20, s16, s52                                // 00000000372C: 85143410
	v_readlane_b32 s72, v3, 5                                  // 000000003730: D2890048 00010B03
	s_cmp_lt_u32 s72, s62                                      // 000000003738: BF0A3E48
	s_cselect_b32 s21, s16, s52                                // 00000000373C: 85153410
	s_mov_b64 exec, s[20:21]                                   // 000000003740: BEFE0114
	buffer_store_dword v40, v6, s[8:11], 0 offen               // 000000003744: E0701000 80022806
	buffer_store_dword v42, v6, s[8:11], 0 offen offset:128    // 00000000374C: E0701080 80022A06
	s_mov_b64 exec, s[16:17]                                   // 000000003754: BEFE0110
	v_mov_b32_e32 v6, v47                                      // 000000003758: 7E0C032F
	s_mov_b64 s[52:53], 0                                      // 00000000375C: BEB40180
	v_readlane_b32 s72, v3, 6                                  // 000000003760: D2890048 00010D03
	s_cmp_lt_u32 s72, s62                                      // 000000003768: BF0A3E48
	s_cselect_b32 s20, s16, s52                                // 00000000376C: 85143410
	v_readlane_b32 s72, v3, 7                                  // 000000003770: D2890048 00010F03
	s_cmp_lt_u32 s72, s62                                      // 000000003778: BF0A3E48
	s_cselect_b32 s21, s16, s52                                // 00000000377C: 85153410
	s_mov_b64 exec, s[20:21]                                   // 000000003780: BEFE0114
	buffer_store_dword v41, v6, s[8:11], 0 offen               // 000000003784: E0701000 80022906
	buffer_store_dword v43, v6, s[8:11], 0 offen offset:128    // 00000000378C: E0701080 80022B06
	s_mov_b64 exec, s[16:17]                                   // 000000003794: BEFE0110
	s_waitcnt lgkmcnt(0)                                       // 000000003798: BF8CC07F
	s_barrier                                                  // 00000000379C: BF8A0000
	ds_write_b64 v16, v[52:53]                                 // 0000000037A0: D89A0000 00003410
	ds_write_b64 v16, v[54:55] offset:4352                     // 0000000037A8: D89A1100 00003610
	ds_write_b64 v16, v[56:57] offset:2176                     // 0000000037B0: D89A0880 00003810
	ds_write_b64 v16, v[58:59] offset:6528                     // 0000000037B8: D89A1980 00003A10
	s_waitcnt lgkmcnt(0)                                       // 0000000037C0: BF8CC07F
	s_barrier                                                  // 0000000037C4: BF8A0000
	ds_read_b32 v52, v17                                       // 0000000037C8: D86C0000 34000011
	ds_read_b32 v53, v17 offset:64                             // 0000000037D0: D86C0040 35000011
	ds_read_b32 v54, v17 offset:2176                           // 0000000037D8: D86C0880 36000011
	ds_read_b32 v55, v17 offset:2240                           // 0000000037E0: D86C08C0 37000011
	ds_read_b32 v56, v17 offset:4352                           // 0000000037E8: D86C1100 38000011
	ds_read_b32 v57, v17 offset:4416                           // 0000000037F0: D86C1140 39000011
	ds_read_b32 v58, v17 offset:6528                           // 0000000037F8: D86C1980 3A000011
	ds_read_b32 v59, v17 offset:6592                           // 000000003800: D86C19C0 3B000011
	s_waitcnt lgkmcnt(0)                                       // 000000003808: BF8CC07F
	s_mov_b32 s16, -1                                          // 00000000380C: BE9000C1
	s_mov_b32 s17, -1                                          // 000000003810: BE9100C1
	v_mov_b32_e32 v7, 0                                        // 000000003814: 7E0E0280
	s_add_u32 s8, 0x100, s8                                    // 000000003818: 800808FF 00000100
	s_addc_u32 s9, 0, s9                                       // 000000003820: 82090980
	s_or_b32 s9, s9, 0x40000                                   // 000000003824: 8709FF09 00040000
	s_mov_b64 exec, s[16:17]                                   // 00000000382C: BEFE0110
	v_mov_b32_e32 v6, v44                                      // 000000003830: 7E0C032C
	s_mov_b64 s[52:53], 0                                      // 000000003834: BEB40180
	v_readlane_b32 s72, v3, 0                                  // 000000003838: D2890048 00010103
	s_cmp_lt_u32 s72, s62                                      // 000000003840: BF0A3E48
	s_cselect_b32 s20, s16, s52                                // 000000003844: 85143410
	v_readlane_b32 s72, v3, 1                                  // 000000003848: D2890048 00010303
	s_cmp_lt_u32 s72, s62                                      // 000000003850: BF0A3E48
	s_cselect_b32 s21, s16, s52                                // 000000003854: 85153410
	s_mov_b64 exec, s[20:21]                                   // 000000003858: BEFE0114
	buffer_store_dword v52, v6, s[8:11], 0 offen               // 00000000385C: E0701000 80023406
	buffer_store_dword v54, v6, s[8:11], 0 offen offset:128    // 000000003864: E0701080 80023606
	s_mov_b64 exec, s[16:17]                                   // 00000000386C: BEFE0110
	v_mov_b32_e32 v6, v45                                      // 000000003870: 7E0C032D
	s_mov_b64 s[52:53], 0                                      // 000000003874: BEB40180
	v_readlane_b32 s72, v3, 2                                  // 000000003878: D2890048 00010503
	s_cmp_lt_u32 s72, s62                                      // 000000003880: BF0A3E48
	s_cselect_b32 s20, s16, s52                                // 000000003884: 85143410
	v_readlane_b32 s72, v3, 3                                  // 000000003888: D2890048 00010703
	s_cmp_lt_u32 s72, s62                                      // 000000003890: BF0A3E48
	s_cselect_b32 s21, s16, s52                                // 000000003894: 85153410
	s_mov_b64 exec, s[20:21]                                   // 000000003898: BEFE0114
	buffer_store_dword v53, v6, s[8:11], 0 offen               // 00000000389C: E0701000 80023506
	buffer_store_dword v55, v6, s[8:11], 0 offen offset:128    // 0000000038A4: E0701080 80023706
	s_mov_b64 exec, s[16:17]                                   // 0000000038AC: BEFE0110
	v_mov_b32_e32 v6, v46                                      // 0000000038B0: 7E0C032E
	s_mov_b64 s[52:53], 0                                      // 0000000038B4: BEB40180
	v_readlane_b32 s72, v3, 4                                  // 0000000038B8: D2890048 00010903
	s_cmp_lt_u32 s72, s62                                      // 0000000038C0: BF0A3E48
	s_cselect_b32 s20, s16, s52                                // 0000000038C4: 85143410
	v_readlane_b32 s72, v3, 5                                  // 0000000038C8: D2890048 00010B03
	s_cmp_lt_u32 s72, s62                                      // 0000000038D0: BF0A3E48
	s_cselect_b32 s21, s16, s52                                // 0000000038D4: 85153410
	s_mov_b64 exec, s[20:21]                                   // 0000000038D8: BEFE0114
	buffer_store_dword v56, v6, s[8:11], 0 offen               // 0000000038DC: E0701000 80023806
	buffer_store_dword v58, v6, s[8:11], 0 offen offset:128    // 0000000038E4: E0701080 80023A06
	s_mov_b64 exec, s[16:17]                                   // 0000000038EC: BEFE0110
	v_mov_b32_e32 v6, v47                                      // 0000000038F0: 7E0C032F
	s_mov_b64 s[52:53], 0                                      // 0000000038F4: BEB40180
	v_readlane_b32 s72, v3, 6                                  // 0000000038F8: D2890048 00010D03
	s_cmp_lt_u32 s72, s62                                      // 000000003900: BF0A3E48
	s_cselect_b32 s20, s16, s52                                // 000000003904: 85143410
	v_readlane_b32 s72, v3, 7                                  // 000000003908: D2890048 00010F03
	s_cmp_lt_u32 s72, s62                                      // 000000003910: BF0A3E48
	s_cselect_b32 s21, s16, s52                                // 000000003914: 85153410
	s_mov_b64 exec, s[20:21]                                   // 000000003918: BEFE0114
	buffer_store_dword v57, v6, s[8:11], 0 offen               // 00000000391C: E0701000 80023906
	buffer_store_dword v59, v6, s[8:11], 0 offen offset:128    // 000000003924: E0701080 80023B06
	s_mov_b64 exec, s[16:17]                                   // 00000000392C: BEFE0110
	s_branch label_09FF                                        // 000000003930: BF8205EF

0000000000003934 <label_040D>:
	ds_write_b64 v16, v[36:37]                                 // 000000003934: D89A0000 00002410
	ds_write_b64 v16, v[40:41] offset:4352                     // 00000000393C: D89A1100 00002810
	ds_write_b64 v16, v[44:45] offset:2176                     // 000000003944: D89A0880 00002C10
	ds_write_b64 v16, v[48:49] offset:6528                     // 00000000394C: D89A1980 00003010
	v_lshrrev_b32_e32 v4, 5, v0                                // 000000003954: 20080085
	v_xor_b32_e32 v5, 1, v4                                    // 000000003958: 2A0A0881
	s_mul_i32 s52, s61, 2                                      // 00000000395C: 9234823D
	s_cmp_eq_u32 s74, 0                                        // 000000003960: BF06804A
	s_cselect_b32 s53, 1, 4                                    // 000000003964: 85358481
	s_mul_i32 s52, s53, s52                                    // 000000003968: 92343435
	v_readlane_b32 s72, v3, 0                                  // 00000000396C: D2890048 00010103
	s_mul_i32 s72, s72, s66                                    // 000000003974: 92484248
	v_mul_lo_u32 v6, v5, s72                                   // 000000003978: D2850006 00009105
	v_readlane_b32 s72, v3, 1                                  // 000000003980: D2890048 00010303
	s_mul_i32 s72, s72, s66                                    // 000000003988: 92484248
	v_mul_lo_u32 v7, v4, s72                                   // 00000000398C: D2850007 00009104
	v_add_u32_e32 v44, v6, v7                                  // 000000003994: 68580F06
	v_readlane_b32 s72, v3, 2                                  // 000000003998: D2890048 00010503
	s_mul_i32 s72, s72, s66                                    // 0000000039A0: 92484248
	v_mul_lo_u32 v6, v5, s72                                   // 0000000039A4: D2850006 00009105
	v_readlane_b32 s72, v3, 3                                  // 0000000039AC: D2890048 00010703
	s_mul_i32 s72, s72, s66                                    // 0000000039B4: 92484248
	v_mul_lo_u32 v7, v4, s72                                   // 0000000039B8: D2850007 00009104
	v_add_u32_e32 v45, v6, v7                                  // 0000000039C0: 685A0F06
	v_readlane_b32 s72, v3, 4                                  // 0000000039C4: D2890048 00010903
	s_mul_i32 s72, s72, s66                                    // 0000000039CC: 92484248
	v_mul_lo_u32 v6, v5, s72                                   // 0000000039D0: D2850006 00009105
	v_readlane_b32 s72, v3, 5                                  // 0000000039D8: D2890048 00010B03
	s_mul_i32 s72, s72, s66                                    // 0000000039E0: 92484248
	v_mul_lo_u32 v7, v4, s72                                   // 0000000039E4: D2850007 00009104
	v_add_u32_e32 v46, v6, v7                                  // 0000000039EC: 685C0F06
	v_readlane_b32 s72, v3, 6                                  // 0000000039F0: D2890048 00010D03
	s_mul_i32 s72, s72, s66                                    // 0000000039F8: 92484248
	v_mul_lo_u32 v6, v5, s72                                   // 0000000039FC: D2850006 00009105
	v_readlane_b32 s72, v3, 7                                  // 000000003A04: D2890048 00010F03
	s_mul_i32 s72, s72, s66                                    // 000000003A0C: 92484248
	v_mul_lo_u32 v7, v4, s72                                   // 000000003A10: D2850007 00009104
	v_add_u32_e32 v47, v6, v7                                  // 000000003A18: 685E0F06
	v_and_b32_e32 v4, 31, v0                                   // 000000003A1C: 2608009F
	v_lshrrev_b32_e32 v4, 1, v4                                // 000000003A20: 20080881
	s_cmp_eq_u32 s74, 0                                        // 000000003A24: BF06804A
	s_cselect_b32 s53, 2, 4                                    // 000000003A28: 85358482
	v_mul_lo_u32 v4, v4, s53                                   // 000000003A2C: D2850004 00006B04
	v_and_b32_e64 v5, v0, 1                                    // 000000003A34: D1130005 00010300
	v_add_u32_e32 v4, v4, v5                                   // 000000003A3C: 68080B04
	v_lshlrev_b32_e32 v4, 2, v4                                // 000000003A40: 24080882
	v_add_u32_e32 v44, v44, v4                                 // 000000003A44: 6858092C
	v_add_u32_e32 v45, v45, v4                                 // 000000003A48: 685A092D
	v_add_u32_e32 v46, v46, v4                                 // 000000003A4C: 685C092E
	v_add_u32_e32 v47, v47, v4                                 // 000000003A50: 685E092F
	s_waitcnt lgkmcnt(0)                                       // 000000003A54: BF8CC07F
	s_barrier                                                  // 000000003A58: BF8A0000
	ds_read_b32 v36, v17                                       // 000000003A5C: D86C0000 24000011
	ds_read_b32 v37, v17 offset:64                             // 000000003A64: D86C0040 25000011
	ds_read_b32 v40, v17 offset:2176                           // 000000003A6C: D86C0880 28000011
	ds_read_b32 v41, v17 offset:2240                           // 000000003A74: D86C08C0 29000011
	ds_read_b32 v44, v17 offset:4352                           // 000000003A7C: D86C1100 2C000011
	ds_read_b32 v45, v17 offset:4416                           // 000000003A84: D86C1140 2D000011
	ds_read_b32 v48, v17 offset:6528                           // 000000003A8C: D86C1980 30000011
	ds_read_b32 v49, v17 offset:6592                           // 000000003A94: D86C19C0 31000011
	s_waitcnt lgkmcnt(0)                                       // 000000003A9C: BF8CC07F
	s_mov_b32 s16, -1                                          // 000000003AA0: BE9000C1
	s_mov_b32 s17, -1                                          // 000000003AA4: BE9100C1
	v_mov_b32_e32 v7, 0                                        // 000000003AA8: 7E0E0280
	s_mov_b64 exec, s[16:17]                                   // 000000003AAC: BEFE0110
	v_mov_b32_e32 v6, v44                                      // 000000003AB0: 7E0C032C
	s_mov_b64 s[52:53], 0                                      // 000000003AB4: BEB40180
	v_readlane_b32 s72, v3, 0                                  // 000000003AB8: D2890048 00010103
	s_cmp_lt_u32 s72, s62                                      // 000000003AC0: BF0A3E48
	s_cselect_b32 s20, s16, s52                                // 000000003AC4: 85143410
	v_readlane_b32 s72, v3, 1                                  // 000000003AC8: D2890048 00010303
	s_cmp_lt_u32 s72, s62                                      // 000000003AD0: BF0A3E48
	s_cselect_b32 s21, s16, s52                                // 000000003AD4: 85153410
	s_mov_b64 exec, s[20:21]                                   // 000000003AD8: BEFE0114
	global_atomic_add_f32 v6, v36, s[8:9]                      // 000000003ADC: DD348000 00082406
	global_atomic_add_f32 v6, v40, s[8:9] offset:256           // 000000003AE4: DD348100 00082806
	s_mov_b64 exec, s[16:17]                                   // 000000003AEC: BEFE0110
	v_mov_b32_e32 v6, v45                                      // 000000003AF0: 7E0C032D
	s_mov_b64 s[52:53], 0                                      // 000000003AF4: BEB40180
	v_readlane_b32 s72, v3, 2                                  // 000000003AF8: D2890048 00010503
	s_cmp_lt_u32 s72, s62                                      // 000000003B00: BF0A3E48
	s_cselect_b32 s20, s16, s52                                // 000000003B04: 85143410
	v_readlane_b32 s72, v3, 3                                  // 000000003B08: D2890048 00010703
	s_cmp_lt_u32 s72, s62                                      // 000000003B10: BF0A3E48
	s_cselect_b32 s21, s16, s52                                // 000000003B14: 85153410
	s_mov_b64 exec, s[20:21]                                   // 000000003B18: BEFE0114
	global_atomic_add_f32 v6, v37, s[8:9]                      // 000000003B1C: DD348000 00082506
	global_atomic_add_f32 v6, v41, s[8:9] offset:256           // 000000003B24: DD348100 00082906
	s_mov_b64 exec, s[16:17]                                   // 000000003B2C: BEFE0110
	v_mov_b32_e32 v6, v46                                      // 000000003B30: 7E0C032E
	s_mov_b64 s[52:53], 0                                      // 000000003B34: BEB40180
	v_readlane_b32 s72, v3, 4                                  // 000000003B38: D2890048 00010903
	s_cmp_lt_u32 s72, s62                                      // 000000003B40: BF0A3E48
	s_cselect_b32 s20, s16, s52                                // 000000003B44: 85143410
	v_readlane_b32 s72, v3, 5                                  // 000000003B48: D2890048 00010B03
	s_cmp_lt_u32 s72, s62                                      // 000000003B50: BF0A3E48
	s_cselect_b32 s21, s16, s52                                // 000000003B54: 85153410
	s_mov_b64 exec, s[20:21]                                   // 000000003B58: BEFE0114
	global_atomic_add_f32 v6, v44, s[8:9]                      // 000000003B5C: DD348000 00082C06
	global_atomic_add_f32 v6, v48, s[8:9] offset:256           // 000000003B64: DD348100 00083006
	s_mov_b64 exec, s[16:17]                                   // 000000003B6C: BEFE0110
	v_mov_b32_e32 v6, v47                                      // 000000003B70: 7E0C032F
	s_mov_b64 s[52:53], 0                                      // 000000003B74: BEB40180
	v_readlane_b32 s72, v3, 6                                  // 000000003B78: D2890048 00010D03
	s_cmp_lt_u32 s72, s62                                      // 000000003B80: BF0A3E48
	s_cselect_b32 s20, s16, s52                                // 000000003B84: 85143410
	v_readlane_b32 s72, v3, 7                                  // 000000003B88: D2890048 00010F03
	s_cmp_lt_u32 s72, s62                                      // 000000003B90: BF0A3E48
	s_cselect_b32 s21, s16, s52                                // 000000003B94: 85153410
	s_mov_b64 exec, s[20:21]                                   // 000000003B98: BEFE0114
	global_atomic_add_f32 v6, v45, s[8:9]                      // 000000003B9C: DD348000 00082D06
	global_atomic_add_f32 v6, v49, s[8:9] offset:256           // 000000003BA4: DD348100 00083106
	s_mov_b64 exec, s[16:17]                                   // 000000003BAC: BEFE0110
	ds_write_b64 v16, v[38:39]                                 // 000000003BB0: D89A0000 00002610
	ds_write_b64 v16, v[42:43] offset:4352                     // 000000003BB8: D89A1100 00002A10
	ds_write_b64 v16, v[46:47] offset:2176                     // 000000003BC0: D89A0880 00002E10
	ds_write_b64 v16, v[50:51] offset:6528                     // 000000003BC8: D89A1980 00003210
	s_waitcnt lgkmcnt(0)                                       // 000000003BD0: BF8CC07F
	s_barrier                                                  // 000000003BD4: BF8A0000
	ds_read_b32 v38, v17                                       // 000000003BD8: D86C0000 26000011
	ds_read_b32 v39, v17 offset:64                             // 000000003BE0: D86C0040 27000011
	ds_read_b32 v42, v17 offset:2176                           // 000000003BE8: D86C0880 2A000011
	ds_read_b32 v43, v17 offset:2240                           // 000000003BF0: D86C08C0 2B000011
	ds_read_b32 v46, v17 offset:4352                           // 000000003BF8: D86C1100 2E000011
	ds_read_b32 v47, v17 offset:4416                           // 000000003C00: D86C1140 2F000011
	ds_read_b32 v50, v17 offset:6528                           // 000000003C08: D86C1980 32000011
	ds_read_b32 v51, v17 offset:6592                           // 000000003C10: D86C19C0 33000011
	s_waitcnt lgkmcnt(0)                                       // 000000003C18: BF8CC07F
	v_mov_b32_e32 v7, 0                                        // 000000003C1C: 7E0E0280
	s_mov_b64 exec, s[16:17]                                   // 000000003C20: BEFE0110
	v_mov_b32_e32 v6, v44                                      // 000000003C24: 7E0C032C
	s_mov_b64 s[52:53], 0                                      // 000000003C28: BEB40180
	v_readlane_b32 s72, v3, 0                                  // 000000003C2C: D2890048 00010103
	s_cmp_lt_u32 s72, s62                                      // 000000003C34: BF0A3E48
	s_cselect_b32 s20, s16, s52                                // 000000003C38: 85143410
	v_readlane_b32 s72, v3, 1                                  // 000000003C3C: D2890048 00010303
	s_cmp_lt_u32 s72, s62                                      // 000000003C44: BF0A3E48
	s_cselect_b32 s21, s16, s52                                // 000000003C48: 85153410
	s_mov_b64 exec, s[20:21]                                   // 000000003C4C: BEFE0114
	global_atomic_add_f32 v6, v38, s[8:9] offset:8             // 000000003C50: DD348008 00082606
	global_atomic_add_f32 v6, v42, s[8:9] offset:264           // 000000003C58: DD348108 00082A06
	s_mov_b64 exec, s[16:17]                                   // 000000003C60: BEFE0110
	v_mov_b32_e32 v6, v45                                      // 000000003C64: 7E0C032D
	s_mov_b64 s[52:53], 0                                      // 000000003C68: BEB40180
	v_readlane_b32 s72, v3, 2                                  // 000000003C6C: D2890048 00010503
	s_cmp_lt_u32 s72, s62                                      // 000000003C74: BF0A3E48
	s_cselect_b32 s20, s16, s52                                // 000000003C78: 85143410
	v_readlane_b32 s72, v3, 3                                  // 000000003C7C: D2890048 00010703
	s_cmp_lt_u32 s72, s62                                      // 000000003C84: BF0A3E48
	s_cselect_b32 s21, s16, s52                                // 000000003C88: 85153410
	s_mov_b64 exec, s[20:21]                                   // 000000003C8C: BEFE0114
	global_atomic_add_f32 v6, v39, s[8:9] offset:8             // 000000003C90: DD348008 00082706
	global_atomic_add_f32 v6, v43, s[8:9] offset:264           // 000000003C98: DD348108 00082B06
	s_mov_b64 exec, s[16:17]                                   // 000000003CA0: BEFE0110
	v_mov_b32_e32 v6, v46                                      // 000000003CA4: 7E0C032E
	s_mov_b64 s[52:53], 0                                      // 000000003CA8: BEB40180
	v_readlane_b32 s72, v3, 4                                  // 000000003CAC: D2890048 00010903
	s_cmp_lt_u32 s72, s62                                      // 000000003CB4: BF0A3E48
	s_cselect_b32 s20, s16, s52                                // 000000003CB8: 85143410
	v_readlane_b32 s72, v3, 5                                  // 000000003CBC: D2890048 00010B03
	s_cmp_lt_u32 s72, s62                                      // 000000003CC4: BF0A3E48
	s_cselect_b32 s21, s16, s52                                // 000000003CC8: 85153410
	s_mov_b64 exec, s[20:21]                                   // 000000003CCC: BEFE0114
	global_atomic_add_f32 v6, v46, s[8:9] offset:8             // 000000003CD0: DD348008 00082E06
	global_atomic_add_f32 v6, v50, s[8:9] offset:264           // 000000003CD8: DD348108 00083206
	s_mov_b64 exec, s[16:17]                                   // 000000003CE0: BEFE0110
	v_mov_b32_e32 v6, v47                                      // 000000003CE4: 7E0C032F
	s_mov_b64 s[52:53], 0                                      // 000000003CE8: BEB40180
	v_readlane_b32 s72, v3, 6                                  // 000000003CEC: D2890048 00010D03
	s_cmp_lt_u32 s72, s62                                      // 000000003CF4: BF0A3E48
	s_cselect_b32 s20, s16, s52                                // 000000003CF8: 85143410
	v_readlane_b32 s72, v3, 7                                  // 000000003CFC: D2890048 00010F03
	s_cmp_lt_u32 s72, s62                                      // 000000003D04: BF0A3E48
	s_cselect_b32 s21, s16, s52                                // 000000003D08: 85153410
	s_mov_b64 exec, s[20:21]                                   // 000000003D0C: BEFE0114
	global_atomic_add_f32 v6, v47, s[8:9] offset:8             // 000000003D10: DD348008 00082F06
	global_atomic_add_f32 v6, v51, s[8:9] offset:264           // 000000003D18: DD348108 00083306
	s_mov_b64 exec, s[16:17]                                   // 000000003D20: BEFE0110
	ds_write_b64 v16, v[52:53]                                 // 000000003D24: D89A0000 00003410
	ds_write_b64 v16, v[56:57] offset:4352                     // 000000003D2C: D89A1100 00003810
	ds_write_b64 v16, v[60:61] offset:2176                     // 000000003D34: D89A0880 00003C10
	ds_write_b64 v16, v[64:65] offset:6528                     // 000000003D3C: D89A1980 00004010
	s_waitcnt lgkmcnt(0)                                       // 000000003D44: BF8CC07F
	s_barrier                                                  // 000000003D48: BF8A0000
	ds_read_b32 v52, v17                                       // 000000003D4C: D86C0000 34000011
	ds_read_b32 v53, v17 offset:64                             // 000000003D54: D86C0040 35000011
	ds_read_b32 v56, v17 offset:2176                           // 000000003D5C: D86C0880 38000011
	ds_read_b32 v57, v17 offset:2240                           // 000000003D64: D86C08C0 39000011
	ds_read_b32 v60, v17 offset:4352                           // 000000003D6C: D86C1100 3C000011
	ds_read_b32 v61, v17 offset:4416                           // 000000003D74: D86C1140 3D000011
	ds_read_b32 v64, v17 offset:6528                           // 000000003D7C: D86C1980 40000011
	ds_read_b32 v65, v17 offset:6592                           // 000000003D84: D86C19C0 41000011
	s_mul_i32 s52, s61, 4                                      // 000000003D8C: 9234843D
	s_add_u32 s8, s52, s8                                      // 000000003D90: 80080834
	s_addc_u32 s9, 0, s9                                       // 000000003D94: 82090980
	s_waitcnt lgkmcnt(0)                                       // 000000003D98: BF8CC07F
	v_mov_b32_e32 v7, 0                                        // 000000003D9C: 7E0E0280
	s_mov_b64 exec, s[16:17]                                   // 000000003DA0: BEFE0110
	v_mov_b32_e32 v6, v44                                      // 000000003DA4: 7E0C032C
	s_mov_b64 s[52:53], 0                                      // 000000003DA8: BEB40180
	v_readlane_b32 s72, v3, 0                                  // 000000003DAC: D2890048 00010103
	s_cmp_lt_u32 s72, s62                                      // 000000003DB4: BF0A3E48
	s_cselect_b32 s20, s16, s52                                // 000000003DB8: 85143410
	v_readlane_b32 s72, v3, 1                                  // 000000003DBC: D2890048 00010303
	s_cmp_lt_u32 s72, s62                                      // 000000003DC4: BF0A3E48
	s_cselect_b32 s21, s16, s52                                // 000000003DC8: 85153410
	s_mov_b64 exec, s[20:21]                                   // 000000003DCC: BEFE0114
	global_atomic_add_f32 v6, v52, s[8:9]                      // 000000003DD0: DD348000 00083406
	global_atomic_add_f32 v6, v56, s[8:9] offset:256           // 000000003DD8: DD348100 00083806
	s_mov_b64 exec, s[16:17]                                   // 000000003DE0: BEFE0110
	v_mov_b32_e32 v6, v45                                      // 000000003DE4: 7E0C032D
	s_mov_b64 s[52:53], 0                                      // 000000003DE8: BEB40180
	v_readlane_b32 s72, v3, 2                                  // 000000003DEC: D2890048 00010503
	s_cmp_lt_u32 s72, s62                                      // 000000003DF4: BF0A3E48
	s_cselect_b32 s20, s16, s52                                // 000000003DF8: 85143410
	v_readlane_b32 s72, v3, 3                                  // 000000003DFC: D2890048 00010703
	s_cmp_lt_u32 s72, s62                                      // 000000003E04: BF0A3E48
	s_cselect_b32 s21, s16, s52                                // 000000003E08: 85153410
	s_mov_b64 exec, s[20:21]                                   // 000000003E0C: BEFE0114
	global_atomic_add_f32 v6, v53, s[8:9]                      // 000000003E10: DD348000 00083506
	global_atomic_add_f32 v6, v57, s[8:9] offset:256           // 000000003E18: DD348100 00083906
	s_mov_b64 exec, s[16:17]                                   // 000000003E20: BEFE0110
	v_mov_b32_e32 v6, v46                                      // 000000003E24: 7E0C032E
	s_mov_b64 s[52:53], 0                                      // 000000003E28: BEB40180
	v_readlane_b32 s72, v3, 4                                  // 000000003E2C: D2890048 00010903
	s_cmp_lt_u32 s72, s62                                      // 000000003E34: BF0A3E48
	s_cselect_b32 s20, s16, s52                                // 000000003E38: 85143410
	v_readlane_b32 s72, v3, 5                                  // 000000003E3C: D2890048 00010B03
	s_cmp_lt_u32 s72, s62                                      // 000000003E44: BF0A3E48
	s_cselect_b32 s21, s16, s52                                // 000000003E48: 85153410
	s_mov_b64 exec, s[20:21]                                   // 000000003E4C: BEFE0114
	global_atomic_add_f32 v6, v60, s[8:9]                      // 000000003E50: DD348000 00083C06
	global_atomic_add_f32 v6, v64, s[8:9] offset:256           // 000000003E58: DD348100 00084006
	s_mov_b64 exec, s[16:17]                                   // 000000003E60: BEFE0110
	v_mov_b32_e32 v6, v47                                      // 000000003E64: 7E0C032F
	s_mov_b64 s[52:53], 0                                      // 000000003E68: BEB40180
	v_readlane_b32 s72, v3, 6                                  // 000000003E6C: D2890048 00010D03
	s_cmp_lt_u32 s72, s62                                      // 000000003E74: BF0A3E48
	s_cselect_b32 s20, s16, s52                                // 000000003E78: 85143410
	v_readlane_b32 s72, v3, 7                                  // 000000003E7C: D2890048 00010F03
	s_cmp_lt_u32 s72, s62                                      // 000000003E84: BF0A3E48
	s_cselect_b32 s21, s16, s52                                // 000000003E88: 85153410
	s_mov_b64 exec, s[20:21]                                   // 000000003E8C: BEFE0114
	global_atomic_add_f32 v6, v61, s[8:9]                      // 000000003E90: DD348000 00083D06
	global_atomic_add_f32 v6, v65, s[8:9] offset:256           // 000000003E98: DD348100 00084106
	s_mov_b64 exec, s[16:17]                                   // 000000003EA0: BEFE0110
	ds_write_b64 v16, v[54:55]                                 // 000000003EA4: D89A0000 00003610
	ds_write_b64 v16, v[58:59] offset:4352                     // 000000003EAC: D89A1100 00003A10
	ds_write_b64 v16, v[62:63] offset:2176                     // 000000003EB4: D89A0880 00003E10
	ds_write_b64 v16, v[66:67] offset:6528                     // 000000003EBC: D89A1980 00004210
	s_waitcnt lgkmcnt(0)                                       // 000000003EC4: BF8CC07F
	s_barrier                                                  // 000000003EC8: BF8A0000
	ds_read_b32 v54, v17                                       // 000000003ECC: D86C0000 36000011
	ds_read_b32 v55, v17 offset:64                             // 000000003ED4: D86C0040 37000011
	ds_read_b32 v58, v17 offset:2176                           // 000000003EDC: D86C0880 3A000011
	ds_read_b32 v59, v17 offset:2240                           // 000000003EE4: D86C08C0 3B000011
	ds_read_b32 v62, v17 offset:4352                           // 000000003EEC: D86C1100 3E000011
	ds_read_b32 v63, v17 offset:4416                           // 000000003EF4: D86C1140 3F000011
	ds_read_b32 v66, v17 offset:6528                           // 000000003EFC: D86C1980 42000011
	ds_read_b32 v67, v17 offset:6592                           // 000000003F04: D86C19C0 43000011
	s_waitcnt lgkmcnt(0)                                       // 000000003F0C: BF8CC07F
	v_mov_b32_e32 v7, 0                                        // 000000003F10: 7E0E0280
	s_mov_b64 exec, s[16:17]                                   // 000000003F14: BEFE0110
	v_mov_b32_e32 v6, v44                                      // 000000003F18: 7E0C032C
	s_mov_b64 s[52:53], 0                                      // 000000003F1C: BEB40180
	v_readlane_b32 s72, v3, 0                                  // 000000003F20: D2890048 00010103
	s_cmp_lt_u32 s72, s62                                      // 000000003F28: BF0A3E48
	s_cselect_b32 s20, s16, s52                                // 000000003F2C: 85143410
	v_readlane_b32 s72, v3, 1                                  // 000000003F30: D2890048 00010303
	s_cmp_lt_u32 s72, s62                                      // 000000003F38: BF0A3E48
	s_cselect_b32 s21, s16, s52                                // 000000003F3C: 85153410
	s_mov_b64 exec, s[20:21]                                   // 000000003F40: BEFE0114
	global_atomic_add_f32 v6, v54, s[8:9] offset:8             // 000000003F44: DD348008 00083606
	global_atomic_add_f32 v6, v58, s[8:9] offset:264           // 000000003F4C: DD348108 00083A06
	s_mov_b64 exec, s[16:17]                                   // 000000003F54: BEFE0110
	v_mov_b32_e32 v6, v45                                      // 000000003F58: 7E0C032D
	s_mov_b64 s[52:53], 0                                      // 000000003F5C: BEB40180
	v_readlane_b32 s72, v3, 2                                  // 000000003F60: D2890048 00010503
	s_cmp_lt_u32 s72, s62                                      // 000000003F68: BF0A3E48
	s_cselect_b32 s20, s16, s52                                // 000000003F6C: 85143410
	v_readlane_b32 s72, v3, 3                                  // 000000003F70: D2890048 00010703
	s_cmp_lt_u32 s72, s62                                      // 000000003F78: BF0A3E48
	s_cselect_b32 s21, s16, s52                                // 000000003F7C: 85153410
	s_mov_b64 exec, s[20:21]                                   // 000000003F80: BEFE0114
	global_atomic_add_f32 v6, v55, s[8:9] offset:8             // 000000003F84: DD348008 00083706
	global_atomic_add_f32 v6, v59, s[8:9] offset:264           // 000000003F8C: DD348108 00083B06
	s_mov_b64 exec, s[16:17]                                   // 000000003F94: BEFE0110
	v_mov_b32_e32 v6, v46                                      // 000000003F98: 7E0C032E
	s_mov_b64 s[52:53], 0                                      // 000000003F9C: BEB40180
	v_readlane_b32 s72, v3, 4                                  // 000000003FA0: D2890048 00010903
	s_cmp_lt_u32 s72, s62                                      // 000000003FA8: BF0A3E48
	s_cselect_b32 s20, s16, s52                                // 000000003FAC: 85143410
	v_readlane_b32 s72, v3, 5                                  // 000000003FB0: D2890048 00010B03
	s_cmp_lt_u32 s72, s62                                      // 000000003FB8: BF0A3E48
	s_cselect_b32 s21, s16, s52                                // 000000003FBC: 85153410
	s_mov_b64 exec, s[20:21]                                   // 000000003FC0: BEFE0114
	global_atomic_add_f32 v6, v62, s[8:9] offset:8             // 000000003FC4: DD348008 00083E06
	global_atomic_add_f32 v6, v66, s[8:9] offset:264           // 000000003FCC: DD348108 00084206
	s_mov_b64 exec, s[16:17]                                   // 000000003FD4: BEFE0110
	v_mov_b32_e32 v6, v47                                      // 000000003FD8: 7E0C032F
	s_mov_b64 s[52:53], 0                                      // 000000003FDC: BEB40180
	v_readlane_b32 s72, v3, 6                                  // 000000003FE0: D2890048 00010D03
	s_cmp_lt_u32 s72, s62                                      // 000000003FE8: BF0A3E48
	s_cselect_b32 s20, s16, s52                                // 000000003FEC: 85143410
	v_readlane_b32 s72, v3, 7                                  // 000000003FF0: D2890048 00010F03
	s_cmp_lt_u32 s72, s62                                      // 000000003FF8: BF0A3E48
	s_cselect_b32 s21, s16, s52                                // 000000003FFC: 85153410
	s_mov_b64 exec, s[20:21]                                   // 000000004000: BEFE0114
	global_atomic_add_f32 v6, v63, s[8:9] offset:8             // 000000004004: DD348008 00083F06
	global_atomic_add_f32 v6, v67, s[8:9] offset:264           // 00000000400C: DD348108 00084306
	s_mov_b64 exec, s[16:17]                                   // 000000004014: BEFE0110
	s_branch label_09FF                                        // 000000004018: BF820435

000000000000401c <label_05CA>:
	s_waitcnt vmcnt(2) lgkmcnt(0)                              // 00000000401C: BF8C0072
	s_barrier                                                  // 000000004020: BF8A0000
	v_mov_b32_e32 v30, v26                                     // 000000004024: 7E3C031A
	v_mov_b32_e32 v31, v27                                     // 000000004028: 7E3E031B
	v_mul_f32_dpp v4, v20, v30 row_newbcast:0 row_mask:0xf bank_mask:0xf// 00000000402C: 0A083CFA FF015014
	v_mfma_f32_16x16x128_f8f6f4 v[8:11], a[32:39], a[0:7], 0   // 000000004034: D3AD0008 1A020120
	buffer_load_dword v23, v19, s[32:35], 0 offen              // 00000000403C: E0501000 80081713
	buffer_load_dwordx4 a[48:51], v33, s[76:79], 0 offen       // 000000004044: E05C1000 80933021
	v_mul_f32_dpp v6, v20, v31 row_newbcast:0 row_mask:0xf bank_mask:0xf// 00000000404C: 0A0C3EFA FF015014
	v_mfma_f32_16x16x128_f8f6f4 v[12:15], a[32:39], a[8:15], 0 // 000000004054: D3AD000C 1A021120
	s_nop 5                                                    // 00000000405C: BF800005
	v_fma_f32 v36, v8, v4, v36                                 // 000000004060: D1CB0024 04920908
	v_fma_f32 v37, v9, v4, v37                                 // 000000004068: D1CB0025 04960909
	v_fma_f32 v38, v10, v4, v38                                // 000000004070: D1CB0026 049A090A
	v_fma_f32 v39, v11, v4, v39                                // 000000004078: D1CB0027 049E090B
	s_waitcnt vmcnt(2)                                         // 000000004080: BF8C0F72
	v_mul_f32_dpp v4, v20, v30 row_newbcast:0 row_mask:0xf bank_mask:0xf// 000000004084: 0A083CFA FF015014
	v_mfma_f32_16x16x128_f8f6f4 v[8:11], a[40:47], a[0:7], 0   // 00000000408C: D3AD0008 1A020128
	buffer_load_dwordx4 a[52:55], v33, s[76:79], 0 offen offset:1024// 000000004094: E05C1400 80933421
	s_add_u32 s52, 0x80, s70                                   // 00000000409C: 803446FF 00000080
	s_cmp_lt_u32 s52, s71                                      // 0000000040A4: BF0A4734
	s_cselect_b32 s73, s73, 0                                  // 0000000040A8: 85498049
	s_cselect_b32 s4, s4, 0                                    // 0000000040AC: 85048004
	s_nop 5                                                    // 0000000040B0: BF800005
	v_fma_f32 v40, v12, v6, v40                                // 0000000040B4: D1CB0028 04A20D0C
	v_fma_f32 v41, v13, v6, v41                                // 0000000040BC: D1CB0029 04A60D0D
	v_fma_f32 v42, v14, v6, v42                                // 0000000040C4: D1CB002A 04AA0D0E
	v_fma_f32 v43, v15, v6, v43                                // 0000000040CC: D1CB002B 04AE0D0F
	v_mul_f32_dpp v6, v20, v31 row_newbcast:0 row_mask:0xf bank_mask:0xf// 0000000040D4: 0A0C3EFA FF015014
	v_mfma_f32_16x16x128_f8f6f4 v[12:15], a[40:47], a[8:15], 0 // 0000000040DC: D3AD000C 1A021128
	s_add_u32 s32, s4, s32                                     // 0000000040E4: 80202004
	s_addc_u32 s33, 0, s33                                     // 0000000040E8: 82212180
	s_nop 5                                                    // 0000000040EC: BF800005
	v_fma_f32 v44, v8, v4, v44                                 // 0000000040F0: D1CB002C 04B20908
	v_fma_f32 v45, v9, v4, v45                                 // 0000000040F8: D1CB002D 04B60909
	v_fma_f32 v46, v10, v4, v46                                // 000000004100: D1CB002E 04BA090A
	v_fma_f32 v47, v11, v4, v47                                // 000000004108: D1CB002F 04BE090B
	s_nop 5                                                    // 000000004110: BF800005
	v_fma_f32 v48, v12, v6, v48                                // 000000004114: D1CB0030 04C20D0C
	v_fma_f32 v49, v13, v6, v49                                // 00000000411C: D1CB0031 04C60D0D
	v_fma_f32 v50, v14, v6, v50                                // 000000004124: D1CB0032 04CA0D0E
	v_fma_f32 v51, v15, v6, v51                                // 00000000412C: D1CB0033 04CE0D0F
	buffer_load_dwordx4 a[56:59], v34, s[76:79], 0 offen       // 000000004134: E05C1000 80933822
	buffer_load_dwordx4 a[60:63], v34, s[76:79], 0 offen offset:1024// 00000000413C: E05C1400 80933C22
	buffer_load_dwordx4 v32, s[20:23], 0 offen lds             // 000000004144: E05D1000 80050020
	s_add_u32 m0, 0, s47                                       // 00000000414C: 807C2F80
	buffer_load_dword v26, v24, s[28:31], 0 offen              // 000000004150: E0501000 80071A18
	buffer_load_dword v27, v25, s[28:31], 0 offen              // 000000004158: E0501000 80071B19
	s_waitcnt vmcnt(3)                                         // 000000004160: BF8C0F73
	v_mul_f32_dpp v4, v23, v30 row_newbcast:0 row_mask:0xf bank_mask:0xf// 000000004164: 0A083CFA FF015017
	v_mfma_f32_16x16x128_f8f6f4 v[8:11], a[48:55], a[0:7], 0   // 00000000416C: D3AD0008 1A020130
	buffer_load_dword v20, v18, s[32:35], 0 offen              // 000000004174: E0501000 80081412
	buffer_load_dwordx4 a[32:35], v33, s[24:27], 0 offen       // 00000000417C: E05C1000 80862021
	s_add_u32 s76, s73, s24                                    // 000000004184: 804C1849
	s_addc_u32 s77, 0, s77                                     // 000000004188: 824D4D80
	v_mfma_f32_16x16x128_f8f6f4 v[12:15], a[56:63], a[0:7], 0  // 00000000418C: D3AD000C 1A020138
	ds_read_b128 a[16:19], v2 offset:4224                      // 000000004194: DBFE1080 10000002
	ds_read_b128 a[20:23], v2 offset:4288                      // 00000000419C: DBFE10C0 14000002
	s_add_u32 s52, 0x180, s70                                  // 0000000041A4: 803446FF 00000180
	s_cmp_lt_u32 s52, s71                                      // 0000000041AC: BF0A4734
	s_cselect_b32 s57, s57, 0                                  // 0000000041B0: 85398039
	s_cselect_b32 s6, s6, 0                                    // 0000000041B4: 85068006
	s_nop 5                                                    // 0000000041B8: BF800005
	v_fma_f32 v52, v8, v4, v52                                 // 0000000041BC: D1CB0034 04D20908
	v_fma_f32 v53, v9, v4, v53                                 // 0000000041C4: D1CB0035 04D60909
	v_fma_f32 v54, v10, v4, v54                                // 0000000041CC: D1CB0036 04DA090A
	v_fma_f32 v55, v11, v4, v55                                // 0000000041D4: D1CB0037 04DE090B
	v_mul_f32_dpp v6, v23, v31 row_newbcast:0 row_mask:0xf bank_mask:0xf// 0000000041DC: 0A0C3EFA FF015017
	v_mfma_f32_16x16x128_f8f6f4 v[8:11], a[48:55], a[8:15], 0  // 0000000041E4: D3AD0008 1A021130
	buffer_load_dwordx4 a[36:39], v33, s[24:27], 0 offen offset:1024// 0000000041EC: E05C1400 80862421
	s_add_u32 s20, s57, s20                                    // 0000000041F4: 80141439
	s_addc_u32 s21, 0, s21                                     // 0000000041F8: 82151580
	s_add_u32 s28, s6, s28                                     // 0000000041FC: 801C1C06
	s_addc_u32 s29, 0, s29                                     // 000000004200: 821D1D80
	s_nop 5                                                    // 000000004204: BF800005
	v_fma_f32 v60, v12, v4, v60                                // 000000004208: D1CB003C 04F2090C
	v_fma_f32 v61, v13, v4, v61                                // 000000004210: D1CB003D 04F6090D
	v_fma_f32 v62, v14, v4, v62                                // 000000004218: D1CB003E 04FA090E
	v_fma_f32 v63, v15, v4, v63                                // 000000004220: D1CB003F 04FE090F
	v_mfma_f32_16x16x128_f8f6f4 v[12:15], a[56:63], a[8:15], 0 // 000000004228: D3AD000C 1A021138
	ds_read_b128 a[24:27], v2 offset:4736                      // 000000004230: DBFE1280 18000002
	ds_read_b128 a[28:31], v2 offset:4800                      // 000000004238: DBFE12C0 1C000002
	s_nop 5                                                    // 000000004240: BF800005
	v_fma_f32 v56, v8, v6, v56                                 // 000000004244: D1CB0038 04E20D08
	v_fma_f32 v57, v9, v6, v57                                 // 00000000424C: D1CB0039 04E60D09
	v_fma_f32 v58, v10, v6, v58                                // 000000004254: D1CB003A 04EA0D0A
	v_fma_f32 v59, v11, v6, v59                                // 00000000425C: D1CB003B 04EE0D0B
	s_nop 5                                                    // 000000004264: BF800005
	v_fma_f32 v64, v12, v6, v64                                // 000000004268: D1CB0040 05020D0C
	v_fma_f32 v65, v13, v6, v65                                // 000000004270: D1CB0041 05060D0D
	v_fma_f32 v66, v14, v6, v66                                // 000000004278: D1CB0042 050A0D0E
	v_fma_f32 v67, v15, v6, v67                                // 000000004280: D1CB0043 050E0D0F
	buffer_load_dwordx4 a[40:43], v34, s[24:27], 0 offen       // 000000004288: E05C1000 80862822
	buffer_load_dwordx4 a[44:47], v34, s[24:27], 0 offen offset:1024// 000000004290: E05C1400 80862C22
	s_add_u32 s52, 0x100, s70                                  // 000000004298: 803446FF 00000100
	s_cmp_lt_u32 s52, s71                                      // 0000000042A0: BF0A4734
	s_cselect_b32 s58, s58, 0                                  // 0000000042A4: 853A803A
	s_add_u32 s24, s58, s24                                    // 0000000042A8: 8018183A
	s_addc_u32 s25, 0, s25                                     // 0000000042AC: 82191980
	s_addk_i32 s70, 0x80                                       // 0000000042B0: B7460080
	s_cmp_lt_i32 s70, s71                                      // 0000000042B4: BF044746
	s_cbranch_scc0 label_071B                                  // 0000000042B8: BF8400A9
	s_waitcnt vmcnt(2) lgkmcnt(0)                              // 0000000042BC: BF8C0072
	s_barrier                                                  // 0000000042C0: BF8A0000
	v_mov_b32_e32 v30, v28                                     // 0000000042C4: 7E3C031C
	v_mov_b32_e32 v31, v29                                     // 0000000042C8: 7E3E031D
	v_mul_f32_dpp v4, v20, v30 row_newbcast:0 row_mask:0xf bank_mask:0xf// 0000000042CC: 0A083CFA FF015014
	v_mfma_f32_16x16x128_f8f6f4 v[8:11], a[32:39], a[16:23], 0 // 0000000042D4: D3AD0008 1A022120
	buffer_load_dword v23, v19, s[32:35], 0 offen              // 0000000042DC: E0501000 80081713
	buffer_load_dwordx4 a[48:51], v33, s[76:79], 0 offen       // 0000000042E4: E05C1000 80933021
	v_mul_f32_dpp v6, v20, v31 row_newbcast:0 row_mask:0xf bank_mask:0xf// 0000000042EC: 0A0C3EFA FF015014
	v_mfma_f32_16x16x128_f8f6f4 v[12:15], a[32:39], a[24:31], 0// 0000000042F4: D3AD000C 1A023120
	s_nop 5                                                    // 0000000042FC: BF800005
	v_fma_f32 v36, v8, v4, v36                                 // 000000004300: D1CB0024 04920908
	v_fma_f32 v37, v9, v4, v37                                 // 000000004308: D1CB0025 04960909
	v_fma_f32 v38, v10, v4, v38                                // 000000004310: D1CB0026 049A090A
	v_fma_f32 v39, v11, v4, v39                                // 000000004318: D1CB0027 049E090B
	s_waitcnt vmcnt(2)                                         // 000000004320: BF8C0F72
	v_mul_f32_dpp v4, v20, v30 row_newbcast:0 row_mask:0xf bank_mask:0xf// 000000004324: 0A083CFA FF015014
	v_mfma_f32_16x16x128_f8f6f4 v[8:11], a[40:47], a[16:23], 0 // 00000000432C: D3AD0008 1A022128
	buffer_load_dwordx4 a[52:55], v33, s[76:79], 0 offen offset:1024// 000000004334: E05C1400 80933421
	s_add_u32 s52, 0x80, s70                                   // 00000000433C: 803446FF 00000080
	s_cmp_lt_u32 s52, s71                                      // 000000004344: BF0A4734
	s_cselect_b32 s73, s73, 0                                  // 000000004348: 85498049
	s_cselect_b32 s4, s4, 0                                    // 00000000434C: 85048004
	s_nop 5                                                    // 000000004350: BF800005
	v_fma_f32 v40, v12, v6, v40                                // 000000004354: D1CB0028 04A20D0C
	v_fma_f32 v41, v13, v6, v41                                // 00000000435C: D1CB0029 04A60D0D
	v_fma_f32 v42, v14, v6, v42                                // 000000004364: D1CB002A 04AA0D0E
	v_fma_f32 v43, v15, v6, v43                                // 00000000436C: D1CB002B 04AE0D0F
	v_mul_f32_dpp v6, v20, v31 row_newbcast:0 row_mask:0xf bank_mask:0xf// 000000004374: 0A0C3EFA FF015014
	v_mfma_f32_16x16x128_f8f6f4 v[12:15], a[40:47], a[24:31], 0// 00000000437C: D3AD000C 1A023128
	s_add_u32 s32, s4, s32                                     // 000000004384: 80202004
	s_addc_u32 s33, 0, s33                                     // 000000004388: 82212180
	s_nop 5                                                    // 00000000438C: BF800005
	v_fma_f32 v44, v8, v4, v44                                 // 000000004390: D1CB002C 04B20908
	v_fma_f32 v45, v9, v4, v45                                 // 000000004398: D1CB002D 04B60909
	v_fma_f32 v46, v10, v4, v46                                // 0000000043A0: D1CB002E 04BA090A
	v_fma_f32 v47, v11, v4, v47                                // 0000000043A8: D1CB002F 04BE090B
	s_nop 5                                                    // 0000000043B0: BF800005
	v_fma_f32 v48, v12, v6, v48                                // 0000000043B4: D1CB0030 04C20D0C
	v_fma_f32 v49, v13, v6, v49                                // 0000000043BC: D1CB0031 04C60D0D
	v_fma_f32 v50, v14, v6, v50                                // 0000000043C4: D1CB0032 04CA0D0E
	v_fma_f32 v51, v15, v6, v51                                // 0000000043CC: D1CB0033 04CE0D0F
	buffer_load_dwordx4 a[56:59], v34, s[76:79], 0 offen       // 0000000043D4: E05C1000 80933822
	buffer_load_dwordx4 a[60:63], v34, s[76:79], 0 offen offset:1024// 0000000043DC: E05C1400 80933C22
	buffer_load_dwordx4 v32, s[20:23], 0 offen lds             // 0000000043E4: E05D1000 80050020
	s_add_u32 m0, 0, s46                                       // 0000000043EC: 807C2E80
	buffer_load_dword v28, v24, s[28:31], 0 offen              // 0000000043F0: E0501000 80071C18
	buffer_load_dword v29, v25, s[28:31], 0 offen              // 0000000043F8: E0501000 80071D19
	s_waitcnt vmcnt(3)                                         // 000000004400: BF8C0F73
	v_mul_f32_dpp v4, v23, v30 row_newbcast:0 row_mask:0xf bank_mask:0xf// 000000004404: 0A083CFA FF015017
	v_mfma_f32_16x16x128_f8f6f4 v[8:11], a[48:55], a[16:23], 0 // 00000000440C: D3AD0008 1A022130
	buffer_load_dword v20, v18, s[32:35], 0 offen              // 000000004414: E0501000 80081412
	buffer_load_dwordx4 a[32:35], v33, s[24:27], 0 offen       // 00000000441C: E05C1000 80862021
	s_add_u32 s76, s73, s24                                    // 000000004424: 804C1849
	s_addc_u32 s77, 0, s77                                     // 000000004428: 824D4D80
	v_mfma_f32_16x16x128_f8f6f4 v[12:15], a[56:63], a[16:23], 0// 00000000442C: D3AD000C 1A022138
	ds_read_b128 a[0:3], v2                                    // 000000004434: DBFE0000 00000002
	ds_read_b128 a[4:7], v2 offset:64                          // 00000000443C: DBFE0040 04000002
	s_add_u32 s52, 0x180, s70                                  // 000000004444: 803446FF 00000180
	s_cmp_lt_u32 s52, s71                                      // 00000000444C: BF0A4734
	s_cselect_b32 s57, s57, 0                                  // 000000004450: 85398039
	s_cselect_b32 s6, s6, 0                                    // 000000004454: 85068006
	s_nop 5                                                    // 000000004458: BF800005
	v_fma_f32 v52, v8, v4, v52                                 // 00000000445C: D1CB0034 04D20908
	v_fma_f32 v53, v9, v4, v53                                 // 000000004464: D1CB0035 04D60909
	v_fma_f32 v54, v10, v4, v54                                // 00000000446C: D1CB0036 04DA090A
	v_fma_f32 v55, v11, v4, v55                                // 000000004474: D1CB0037 04DE090B
	v_mul_f32_dpp v6, v23, v31 row_newbcast:0 row_mask:0xf bank_mask:0xf// 00000000447C: 0A0C3EFA FF015017
	v_mfma_f32_16x16x128_f8f6f4 v[8:11], a[48:55], a[24:31], 0 // 000000004484: D3AD0008 1A023130
	buffer_load_dwordx4 a[36:39], v33, s[24:27], 0 offen offset:1024// 00000000448C: E05C1400 80862421
	s_add_u32 s20, s57, s20                                    // 000000004494: 80141439
	s_addc_u32 s21, 0, s21                                     // 000000004498: 82151580
	s_add_u32 s28, s6, s28                                     // 00000000449C: 801C1C06
	s_addc_u32 s29, 0, s29                                     // 0000000044A0: 821D1D80
	s_nop 5                                                    // 0000000044A4: BF800005
	v_fma_f32 v60, v12, v4, v60                                // 0000000044A8: D1CB003C 04F2090C
	v_fma_f32 v61, v13, v4, v61                                // 0000000044B0: D1CB003D 04F6090D
	v_fma_f32 v62, v14, v4, v62                                // 0000000044B8: D1CB003E 04FA090E
	v_fma_f32 v63, v15, v4, v63                                // 0000000044C0: D1CB003F 04FE090F
	v_mfma_f32_16x16x128_f8f6f4 v[12:15], a[56:63], a[24:31], 0// 0000000044C8: D3AD000C 1A023138
	ds_read_b128 a[8:11], v2 offset:512                        // 0000000044D0: DBFE0200 08000002
	ds_read_b128 a[12:15], v2 offset:576                       // 0000000044D8: DBFE0240 0C000002
	s_nop 5                                                    // 0000000044E0: BF800005
	v_fma_f32 v56, v8, v6, v56                                 // 0000000044E4: D1CB0038 04E20D08
	v_fma_f32 v57, v9, v6, v57                                 // 0000000044EC: D1CB0039 04E60D09
	v_fma_f32 v58, v10, v6, v58                                // 0000000044F4: D1CB003A 04EA0D0A
	v_fma_f32 v59, v11, v6, v59                                // 0000000044FC: D1CB003B 04EE0D0B
	s_nop 5                                                    // 000000004504: BF800005
	v_fma_f32 v64, v12, v6, v64                                // 000000004508: D1CB0040 05020D0C
	v_fma_f32 v65, v13, v6, v65                                // 000000004510: D1CB0041 05060D0D
	v_fma_f32 v66, v14, v6, v66                                // 000000004518: D1CB0042 050A0D0E
	v_fma_f32 v67, v15, v6, v67                                // 000000004520: D1CB0043 050E0D0F
	buffer_load_dwordx4 a[40:43], v34, s[24:27], 0 offen       // 000000004528: E05C1000 80862822
	buffer_load_dwordx4 a[44:47], v34, s[24:27], 0 offen offset:1024// 000000004530: E05C1400 80862C22
	s_add_u32 s52, 0x100, s70                                  // 000000004538: 803446FF 00000100
	s_cmp_lt_u32 s52, s71                                      // 000000004540: BF0A4734
	s_cselect_b32 s58, s58, 0                                  // 000000004544: 853A803A
	s_add_u32 s24, s58, s24                                    // 000000004548: 8018183A
	s_addc_u32 s25, 0, s25                                     // 00000000454C: 82191980
	s_addk_i32 s70, 0x80                                       // 000000004550: B7460080
	s_cmp_lt_i32 s70, s71                                      // 000000004554: BF044746
	s_cbranch_scc0 label_071B                                  // 000000004558: BF840001
	s_branch label_05CA                                        // 00000000455C: BF82FEAF

0000000000004560 <label_071B>:
	s_cmp_eq_u32 s74, 0                                        // 000000004560: BF06804A
	s_cbranch_scc0 label_0845                                  // 000000004564: BF840128
	v_cvt_pk_bf16_f32 v36, v36, v37                            // 000000004568: D2680024 00024B24
	v_cvt_pk_bf16_f32 v37, v38, v39                            // 000000004570: D2680025 00024F26
	v_cvt_pk_bf16_f32 v38, v40, v41                            // 000000004578: D2680026 00025328
	v_cvt_pk_bf16_f32 v39, v42, v43                            // 000000004580: D2680027 0002572A
	v_cvt_pk_bf16_f32 v40, v44, v45                            // 000000004588: D2680028 00025B2C
	v_cvt_pk_bf16_f32 v41, v46, v47                            // 000000004590: D2680029 00025F2E
	v_cvt_pk_bf16_f32 v42, v48, v49                            // 000000004598: D268002A 00026330
	v_cvt_pk_bf16_f32 v43, v50, v51                            // 0000000045A0: D268002B 00026732
	ds_write_b64 v16, v[36:37]                                 // 0000000045A8: D89A0000 00002410
	ds_write_b64 v16, v[38:39] offset:4352                     // 0000000045B0: D89A1100 00002610
	ds_write_b64 v16, v[40:41] offset:2176                     // 0000000045B8: D89A0880 00002810
	ds_write_b64 v16, v[42:43] offset:6528                     // 0000000045C0: D89A1980 00002A10
	v_cvt_pk_bf16_f32 v52, v52, v53                            // 0000000045C8: D2680034 00026B34
	v_cvt_pk_bf16_f32 v53, v54, v55                            // 0000000045D0: D2680035 00026F36
	v_cvt_pk_bf16_f32 v54, v56, v57                            // 0000000045D8: D2680036 00027338
	v_cvt_pk_bf16_f32 v55, v58, v59                            // 0000000045E0: D2680037 0002773A
	v_cvt_pk_bf16_f32 v56, v60, v61                            // 0000000045E8: D2680038 00027B3C
	v_cvt_pk_bf16_f32 v57, v62, v63                            // 0000000045F0: D2680039 00027F3E
	v_cvt_pk_bf16_f32 v58, v64, v65                            // 0000000045F8: D268003A 00028340
	v_cvt_pk_bf16_f32 v59, v66, v67                            // 000000004600: D268003B 00028742
	v_lshrrev_b32_e32 v4, 5, v0                                // 000000004608: 20080085
	v_xor_b32_e32 v5, 1, v4                                    // 00000000460C: 2A0A0881
	s_mul_i32 s52, s61, 2                                      // 000000004610: 9234823D
	s_cmp_eq_u32 s74, 0                                        // 000000004614: BF06804A
	s_cselect_b32 s53, 1, 4                                    // 000000004618: 85358481
	s_mul_i32 s52, s53, s52                                    // 00000000461C: 92343435
	v_readlane_b32 s72, v3, 0                                  // 000000004620: D2890048 00010103
	s_mul_i32 s72, s72, s66                                    // 000000004628: 92484248
	v_mul_lo_u32 v6, v5, s72                                   // 00000000462C: D2850006 00009105
	v_readlane_b32 s72, v3, 1                                  // 000000004634: D2890048 00010303
	s_mul_i32 s72, s72, s66                                    // 00000000463C: 92484248
	v_mul_lo_u32 v7, v4, s72                                   // 000000004640: D2850007 00009104
	v_add_u32_e32 v44, v6, v7                                  // 000000004648: 68580F06
	v_readlane_b32 s72, v3, 2                                  // 00000000464C: D2890048 00010503
	s_mul_i32 s72, s72, s66                                    // 000000004654: 92484248
	v_mul_lo_u32 v6, v5, s72                                   // 000000004658: D2850006 00009105
	v_readlane_b32 s72, v3, 3                                  // 000000004660: D2890048 00010703
	s_mul_i32 s72, s72, s66                                    // 000000004668: 92484248
	v_mul_lo_u32 v7, v4, s72                                   // 00000000466C: D2850007 00009104
	v_add_u32_e32 v45, v6, v7                                  // 000000004674: 685A0F06
	v_readlane_b32 s72, v3, 4                                  // 000000004678: D2890048 00010903
	s_mul_i32 s72, s72, s66                                    // 000000004680: 92484248
	v_mul_lo_u32 v6, v5, s72                                   // 000000004684: D2850006 00009105
	v_readlane_b32 s72, v3, 5                                  // 00000000468C: D2890048 00010B03
	s_mul_i32 s72, s72, s66                                    // 000000004694: 92484248
	v_mul_lo_u32 v7, v4, s72                                   // 000000004698: D2850007 00009104
	v_add_u32_e32 v46, v6, v7                                  // 0000000046A0: 685C0F06
	v_readlane_b32 s72, v3, 6                                  // 0000000046A4: D2890048 00010D03
	s_mul_i32 s72, s72, s66                                    // 0000000046AC: 92484248
	v_mul_lo_u32 v6, v5, s72                                   // 0000000046B0: D2850006 00009105
	v_readlane_b32 s72, v3, 7                                  // 0000000046B8: D2890048 00010F03
	s_mul_i32 s72, s72, s66                                    // 0000000046C0: 92484248
	v_mul_lo_u32 v7, v4, s72                                   // 0000000046C4: D2850007 00009104
	v_add_u32_e32 v47, v6, v7                                  // 0000000046CC: 685E0F06
	v_and_b32_e32 v4, 31, v0                                   // 0000000046D0: 2608009F
	v_lshrrev_b32_e32 v4, 1, v4                                // 0000000046D4: 20080881
	s_cmp_eq_u32 s74, 0                                        // 0000000046D8: BF06804A
	s_cselect_b32 s53, 2, 4                                    // 0000000046DC: 85358482
	v_mul_lo_u32 v4, v4, s53                                   // 0000000046E0: D2850004 00006B04
	v_and_b32_e64 v5, v0, 1                                    // 0000000046E8: D1130005 00010300
	v_add_u32_e32 v4, v4, v5                                   // 0000000046F0: 68080B04
	v_lshlrev_b32_e32 v4, 2, v4                                // 0000000046F4: 24080882
	v_add_u32_e32 v44, v44, v4                                 // 0000000046F8: 6858092C
	v_add_u32_e32 v45, v45, v4                                 // 0000000046FC: 685A092D
	v_add_u32_e32 v46, v46, v4                                 // 000000004700: 685C092E
	v_add_u32_e32 v47, v47, v4                                 // 000000004704: 685E092F
	s_waitcnt lgkmcnt(0)                                       // 000000004708: BF8CC07F
	s_barrier                                                  // 00000000470C: BF8A0000
	ds_read_b32 v36, v17                                       // 000000004710: D86C0000 24000011
	ds_read_b32 v37, v17 offset:64                             // 000000004718: D86C0040 25000011
	ds_read_b32 v38, v17 offset:2176                           // 000000004720: D86C0880 26000011
	ds_read_b32 v39, v17 offset:2240                           // 000000004728: D86C08C0 27000011
	ds_read_b32 v40, v17 offset:4352                           // 000000004730: D86C1100 28000011
	ds_read_b32 v41, v17 offset:4416                           // 000000004738: D86C1140 29000011
	ds_read_b32 v42, v17 offset:6528                           // 000000004740: D86C1980 2A000011
	ds_read_b32 v43, v17 offset:6592                           // 000000004748: D86C19C0 2B000011
	s_waitcnt lgkmcnt(0)                                       // 000000004750: BF8CC07F
	s_mov_b32 s16, -1                                          // 000000004754: BE9000C1
	s_mov_b32 s17, -1                                          // 000000004758: BE9100C1
	v_mov_b32_e32 v7, 0                                        // 00000000475C: 7E0E0280
	s_or_b32 s9, s9, 0x40000                                   // 000000004760: 8709FF09 00040000
	s_mov_b64 exec, s[16:17]                                   // 000000004768: BEFE0110
	v_mov_b32_e32 v6, v44                                      // 00000000476C: 7E0C032C
	s_mov_b64 s[52:53], 0                                      // 000000004770: BEB40180
	v_readlane_b32 s72, v3, 0                                  // 000000004774: D2890048 00010103
	s_cmp_lt_u32 s72, s62                                      // 00000000477C: BF0A3E48
	s_cselect_b32 s20, s16, s52                                // 000000004780: 85143410
	v_readlane_b32 s72, v3, 1                                  // 000000004784: D2890048 00010303
	s_cmp_lt_u32 s72, s62                                      // 00000000478C: BF0A3E48
	s_cselect_b32 s21, s16, s52                                // 000000004790: 85153410
	s_mov_b64 exec, s[20:21]                                   // 000000004794: BEFE0114
	buffer_store_dword v36, v6, s[8:11], 0 offen               // 000000004798: E0701000 80022406
	buffer_store_dword v38, v6, s[8:11], 0 offen offset:128    // 0000000047A0: E0701080 80022606
	s_mov_b64 exec, s[16:17]                                   // 0000000047A8: BEFE0110
	v_mov_b32_e32 v6, v45                                      // 0000000047AC: 7E0C032D
	s_mov_b64 s[52:53], 0                                      // 0000000047B0: BEB40180
	v_readlane_b32 s72, v3, 2                                  // 0000000047B4: D2890048 00010503
	s_cmp_lt_u32 s72, s62                                      // 0000000047BC: BF0A3E48
	s_cselect_b32 s20, s16, s52                                // 0000000047C0: 85143410
	v_readlane_b32 s72, v3, 3                                  // 0000000047C4: D2890048 00010703
	s_cmp_lt_u32 s72, s62                                      // 0000000047CC: BF0A3E48
	s_cselect_b32 s21, s16, s52                                // 0000000047D0: 85153410
	s_mov_b64 exec, s[20:21]                                   // 0000000047D4: BEFE0114
	buffer_store_dword v37, v6, s[8:11], 0 offen               // 0000000047D8: E0701000 80022506
	buffer_store_dword v39, v6, s[8:11], 0 offen offset:128    // 0000000047E0: E0701080 80022706
	s_mov_b64 exec, s[16:17]                                   // 0000000047E8: BEFE0110
	v_mov_b32_e32 v6, v46                                      // 0000000047EC: 7E0C032E
	s_mov_b64 s[52:53], 0                                      // 0000000047F0: BEB40180
	v_readlane_b32 s72, v3, 4                                  // 0000000047F4: D2890048 00010903
	s_cmp_lt_u32 s72, s62                                      // 0000000047FC: BF0A3E48
	s_cselect_b32 s20, s16, s52                                // 000000004800: 85143410
	v_readlane_b32 s72, v3, 5                                  // 000000004804: D2890048 00010B03
	s_cmp_lt_u32 s72, s62                                      // 00000000480C: BF0A3E48
	s_cselect_b32 s21, s16, s52                                // 000000004810: 85153410
	s_mov_b64 exec, s[20:21]                                   // 000000004814: BEFE0114
	buffer_store_dword v40, v6, s[8:11], 0 offen               // 000000004818: E0701000 80022806
	buffer_store_dword v42, v6, s[8:11], 0 offen offset:128    // 000000004820: E0701080 80022A06
	s_mov_b64 exec, s[16:17]                                   // 000000004828: BEFE0110
	v_mov_b32_e32 v6, v47                                      // 00000000482C: 7E0C032F
	s_mov_b64 s[52:53], 0                                      // 000000004830: BEB40180
	v_readlane_b32 s72, v3, 6                                  // 000000004834: D2890048 00010D03
	s_cmp_lt_u32 s72, s62                                      // 00000000483C: BF0A3E48
	s_cselect_b32 s20, s16, s52                                // 000000004840: 85143410
	v_readlane_b32 s72, v3, 7                                  // 000000004844: D2890048 00010F03
	s_cmp_lt_u32 s72, s62                                      // 00000000484C: BF0A3E48
	s_cselect_b32 s21, s16, s52                                // 000000004850: 85153410
	s_mov_b64 exec, s[20:21]                                   // 000000004854: BEFE0114
	buffer_store_dword v41, v6, s[8:11], 0 offen               // 000000004858: E0701000 80022906
	buffer_store_dword v43, v6, s[8:11], 0 offen offset:128    // 000000004860: E0701080 80022B06
	s_mov_b64 exec, s[16:17]                                   // 000000004868: BEFE0110
	s_waitcnt lgkmcnt(0)                                       // 00000000486C: BF8CC07F
	s_barrier                                                  // 000000004870: BF8A0000
	ds_write_b64 v16, v[52:53]                                 // 000000004874: D89A0000 00003410
	ds_write_b64 v16, v[54:55] offset:4352                     // 00000000487C: D89A1100 00003610
	ds_write_b64 v16, v[56:57] offset:2176                     // 000000004884: D89A0880 00003810
	ds_write_b64 v16, v[58:59] offset:6528                     // 00000000488C: D89A1980 00003A10
	s_waitcnt lgkmcnt(0)                                       // 000000004894: BF8CC07F
	s_barrier                                                  // 000000004898: BF8A0000
	ds_read_b32 v52, v17                                       // 00000000489C: D86C0000 34000011
	ds_read_b32 v53, v17 offset:64                             // 0000000048A4: D86C0040 35000011
	ds_read_b32 v54, v17 offset:2176                           // 0000000048AC: D86C0880 36000011
	ds_read_b32 v55, v17 offset:2240                           // 0000000048B4: D86C08C0 37000011
	ds_read_b32 v56, v17 offset:4352                           // 0000000048BC: D86C1100 38000011
	ds_read_b32 v57, v17 offset:4416                           // 0000000048C4: D86C1140 39000011
	ds_read_b32 v58, v17 offset:6528                           // 0000000048CC: D86C1980 3A000011
	ds_read_b32 v59, v17 offset:6592                           // 0000000048D4: D86C19C0 3B000011
	s_waitcnt lgkmcnt(0)                                       // 0000000048DC: BF8CC07F
	s_mov_b32 s16, -1                                          // 0000000048E0: BE9000C1
	s_mov_b32 s17, -1                                          // 0000000048E4: BE9100C1
	v_mov_b32_e32 v7, 0                                        // 0000000048E8: 7E0E0280
	s_add_u32 s8, 0x100, s8                                    // 0000000048EC: 800808FF 00000100
	s_addc_u32 s9, 0, s9                                       // 0000000048F4: 82090980
	s_or_b32 s9, s9, 0x40000                                   // 0000000048F8: 8709FF09 00040000
	s_mov_b64 exec, s[16:17]                                   // 000000004900: BEFE0110
	v_mov_b32_e32 v6, v44                                      // 000000004904: 7E0C032C
	s_mov_b64 s[52:53], 0                                      // 000000004908: BEB40180
	v_readlane_b32 s72, v3, 0                                  // 00000000490C: D2890048 00010103
	s_cmp_lt_u32 s72, s62                                      // 000000004914: BF0A3E48
	s_cselect_b32 s20, s16, s52                                // 000000004918: 85143410
	v_readlane_b32 s72, v3, 1                                  // 00000000491C: D2890048 00010303
	s_cmp_lt_u32 s72, s62                                      // 000000004924: BF0A3E48
	s_cselect_b32 s21, s16, s52                                // 000000004928: 85153410
	s_mov_b64 exec, s[20:21]                                   // 00000000492C: BEFE0114
	buffer_store_dword v52, v6, s[8:11], 0 offen               // 000000004930: E0701000 80023406
	buffer_store_dword v54, v6, s[8:11], 0 offen offset:128    // 000000004938: E0701080 80023606
	s_mov_b64 exec, s[16:17]                                   // 000000004940: BEFE0110
	v_mov_b32_e32 v6, v45                                      // 000000004944: 7E0C032D
	s_mov_b64 s[52:53], 0                                      // 000000004948: BEB40180
	v_readlane_b32 s72, v3, 2                                  // 00000000494C: D2890048 00010503
	s_cmp_lt_u32 s72, s62                                      // 000000004954: BF0A3E48
	s_cselect_b32 s20, s16, s52                                // 000000004958: 85143410
	v_readlane_b32 s72, v3, 3                                  // 00000000495C: D2890048 00010703
	s_cmp_lt_u32 s72, s62                                      // 000000004964: BF0A3E48
	s_cselect_b32 s21, s16, s52                                // 000000004968: 85153410
	s_mov_b64 exec, s[20:21]                                   // 00000000496C: BEFE0114
	buffer_store_dword v53, v6, s[8:11], 0 offen               // 000000004970: E0701000 80023506
	buffer_store_dword v55, v6, s[8:11], 0 offen offset:128    // 000000004978: E0701080 80023706
	s_mov_b64 exec, s[16:17]                                   // 000000004980: BEFE0110
	v_mov_b32_e32 v6, v46                                      // 000000004984: 7E0C032E
	s_mov_b64 s[52:53], 0                                      // 000000004988: BEB40180
	v_readlane_b32 s72, v3, 4                                  // 00000000498C: D2890048 00010903
	s_cmp_lt_u32 s72, s62                                      // 000000004994: BF0A3E48
	s_cselect_b32 s20, s16, s52                                // 000000004998: 85143410
	v_readlane_b32 s72, v3, 5                                  // 00000000499C: D2890048 00010B03
	s_cmp_lt_u32 s72, s62                                      // 0000000049A4: BF0A3E48
	s_cselect_b32 s21, s16, s52                                // 0000000049A8: 85153410
	s_mov_b64 exec, s[20:21]                                   // 0000000049AC: BEFE0114
	buffer_store_dword v56, v6, s[8:11], 0 offen               // 0000000049B0: E0701000 80023806
	buffer_store_dword v58, v6, s[8:11], 0 offen offset:128    // 0000000049B8: E0701080 80023A06
	s_mov_b64 exec, s[16:17]                                   // 0000000049C0: BEFE0110
	v_mov_b32_e32 v6, v47                                      // 0000000049C4: 7E0C032F
	s_mov_b64 s[52:53], 0                                      // 0000000049C8: BEB40180
	v_readlane_b32 s72, v3, 6                                  // 0000000049CC: D2890048 00010D03
	s_cmp_lt_u32 s72, s62                                      // 0000000049D4: BF0A3E48
	s_cselect_b32 s20, s16, s52                                // 0000000049D8: 85143410
	v_readlane_b32 s72, v3, 7                                  // 0000000049DC: D2890048 00010F03
	s_cmp_lt_u32 s72, s62                                      // 0000000049E4: BF0A3E48
	s_cselect_b32 s21, s16, s52                                // 0000000049E8: 85153410
	s_mov_b64 exec, s[20:21]                                   // 0000000049EC: BEFE0114
	buffer_store_dword v57, v6, s[8:11], 0 offen               // 0000000049F0: E0701000 80023906
	buffer_store_dword v59, v6, s[8:11], 0 offen offset:128    // 0000000049F8: E0701080 80023B06
	s_mov_b64 exec, s[16:17]                                   // 000000004A00: BEFE0110
	s_branch label_09FF                                        // 000000004A04: BF8201BA

0000000000004a08 <label_0845>:
	ds_write_b64 v16, v[36:37]                                 // 000000004A08: D89A0000 00002410
	ds_write_b64 v16, v[40:41] offset:4352                     // 000000004A10: D89A1100 00002810
	ds_write_b64 v16, v[44:45] offset:2176                     // 000000004A18: D89A0880 00002C10
	ds_write_b64 v16, v[48:49] offset:6528                     // 000000004A20: D89A1980 00003010
	v_lshrrev_b32_e32 v4, 5, v0                                // 000000004A28: 20080085
	v_xor_b32_e32 v5, 1, v4                                    // 000000004A2C: 2A0A0881
	s_mul_i32 s52, s61, 2                                      // 000000004A30: 9234823D
	s_cmp_eq_u32 s74, 0                                        // 000000004A34: BF06804A
	s_cselect_b32 s53, 1, 4                                    // 000000004A38: 85358481
	s_mul_i32 s52, s53, s52                                    // 000000004A3C: 92343435
	v_readlane_b32 s72, v3, 0                                  // 000000004A40: D2890048 00010103
	s_mul_i32 s72, s72, s66                                    // 000000004A48: 92484248
	v_mul_lo_u32 v6, v5, s72                                   // 000000004A4C: D2850006 00009105
	v_readlane_b32 s72, v3, 1                                  // 000000004A54: D2890048 00010303
	s_mul_i32 s72, s72, s66                                    // 000000004A5C: 92484248
	v_mul_lo_u32 v7, v4, s72                                   // 000000004A60: D2850007 00009104
	v_add_u32_e32 v44, v6, v7                                  // 000000004A68: 68580F06
	v_readlane_b32 s72, v3, 2                                  // 000000004A6C: D2890048 00010503
	s_mul_i32 s72, s72, s66                                    // 000000004A74: 92484248
	v_mul_lo_u32 v6, v5, s72                                   // 000000004A78: D2850006 00009105
	v_readlane_b32 s72, v3, 3                                  // 000000004A80: D2890048 00010703
	s_mul_i32 s72, s72, s66                                    // 000000004A88: 92484248
	v_mul_lo_u32 v7, v4, s72                                   // 000000004A8C: D2850007 00009104
	v_add_u32_e32 v45, v6, v7                                  // 000000004A94: 685A0F06
	v_readlane_b32 s72, v3, 4                                  // 000000004A98: D2890048 00010903
	s_mul_i32 s72, s72, s66                                    // 000000004AA0: 92484248
	v_mul_lo_u32 v6, v5, s72                                   // 000000004AA4: D2850006 00009105
	v_readlane_b32 s72, v3, 5                                  // 000000004AAC: D2890048 00010B03
	s_mul_i32 s72, s72, s66                                    // 000000004AB4: 92484248
	v_mul_lo_u32 v7, v4, s72                                   // 000000004AB8: D2850007 00009104
	v_add_u32_e32 v46, v6, v7                                  // 000000004AC0: 685C0F06
	v_readlane_b32 s72, v3, 6                                  // 000000004AC4: D2890048 00010D03
	s_mul_i32 s72, s72, s66                                    // 000000004ACC: 92484248
	v_mul_lo_u32 v6, v5, s72                                   // 000000004AD0: D2850006 00009105
	v_readlane_b32 s72, v3, 7                                  // 000000004AD8: D2890048 00010F03
	s_mul_i32 s72, s72, s66                                    // 000000004AE0: 92484248
	v_mul_lo_u32 v7, v4, s72                                   // 000000004AE4: D2850007 00009104
	v_add_u32_e32 v47, v6, v7                                  // 000000004AEC: 685E0F06
	v_and_b32_e32 v4, 31, v0                                   // 000000004AF0: 2608009F
	v_lshrrev_b32_e32 v4, 1, v4                                // 000000004AF4: 20080881
	s_cmp_eq_u32 s74, 0                                        // 000000004AF8: BF06804A
	s_cselect_b32 s53, 2, 4                                    // 000000004AFC: 85358482
	v_mul_lo_u32 v4, v4, s53                                   // 000000004B00: D2850004 00006B04
	v_and_b32_e64 v5, v0, 1                                    // 000000004B08: D1130005 00010300
	v_add_u32_e32 v4, v4, v5                                   // 000000004B10: 68080B04
	v_lshlrev_b32_e32 v4, 2, v4                                // 000000004B14: 24080882
	v_add_u32_e32 v44, v44, v4                                 // 000000004B18: 6858092C
	v_add_u32_e32 v45, v45, v4                                 // 000000004B1C: 685A092D
	v_add_u32_e32 v46, v46, v4                                 // 000000004B20: 685C092E
	v_add_u32_e32 v47, v47, v4                                 // 000000004B24: 685E092F
	s_waitcnt lgkmcnt(0)                                       // 000000004B28: BF8CC07F
	s_barrier                                                  // 000000004B2C: BF8A0000
	ds_read_b32 v36, v17                                       // 000000004B30: D86C0000 24000011
	ds_read_b32 v37, v17 offset:64                             // 000000004B38: D86C0040 25000011
	ds_read_b32 v40, v17 offset:2176                           // 000000004B40: D86C0880 28000011
	ds_read_b32 v41, v17 offset:2240                           // 000000004B48: D86C08C0 29000011
	ds_read_b32 v44, v17 offset:4352                           // 000000004B50: D86C1100 2C000011
	ds_read_b32 v45, v17 offset:4416                           // 000000004B58: D86C1140 2D000011
	ds_read_b32 v48, v17 offset:6528                           // 000000004B60: D86C1980 30000011
	ds_read_b32 v49, v17 offset:6592                           // 000000004B68: D86C19C0 31000011
	s_waitcnt lgkmcnt(0)                                       // 000000004B70: BF8CC07F
	s_mov_b32 s16, -1                                          // 000000004B74: BE9000C1
	s_mov_b32 s17, -1                                          // 000000004B78: BE9100C1
	v_mov_b32_e32 v7, 0                                        // 000000004B7C: 7E0E0280
	s_mov_b64 exec, s[16:17]                                   // 000000004B80: BEFE0110
	v_mov_b32_e32 v6, v44                                      // 000000004B84: 7E0C032C
	s_mov_b64 s[52:53], 0                                      // 000000004B88: BEB40180
	v_readlane_b32 s72, v3, 0                                  // 000000004B8C: D2890048 00010103
	s_cmp_lt_u32 s72, s62                                      // 000000004B94: BF0A3E48
	s_cselect_b32 s20, s16, s52                                // 000000004B98: 85143410
	v_readlane_b32 s72, v3, 1                                  // 000000004B9C: D2890048 00010303
	s_cmp_lt_u32 s72, s62                                      // 000000004BA4: BF0A3E48
	s_cselect_b32 s21, s16, s52                                // 000000004BA8: 85153410
	s_mov_b64 exec, s[20:21]                                   // 000000004BAC: BEFE0114
	global_atomic_add_f32 v6, v36, s[8:9]                      // 000000004BB0: DD348000 00082406
	global_atomic_add_f32 v6, v40, s[8:9] offset:256           // 000000004BB8: DD348100 00082806
	s_mov_b64 exec, s[16:17]                                   // 000000004BC0: BEFE0110
	v_mov_b32_e32 v6, v45                                      // 000000004BC4: 7E0C032D
	s_mov_b64 s[52:53], 0                                      // 000000004BC8: BEB40180
	v_readlane_b32 s72, v3, 2                                  // 000000004BCC: D2890048 00010503
	s_cmp_lt_u32 s72, s62                                      // 000000004BD4: BF0A3E48
	s_cselect_b32 s20, s16, s52                                // 000000004BD8: 85143410
	v_readlane_b32 s72, v3, 3                                  // 000000004BDC: D2890048 00010703
	s_cmp_lt_u32 s72, s62                                      // 000000004BE4: BF0A3E48
	s_cselect_b32 s21, s16, s52                                // 000000004BE8: 85153410
	s_mov_b64 exec, s[20:21]                                   // 000000004BEC: BEFE0114
	global_atomic_add_f32 v6, v37, s[8:9]                      // 000000004BF0: DD348000 00082506
	global_atomic_add_f32 v6, v41, s[8:9] offset:256           // 000000004BF8: DD348100 00082906
	s_mov_b64 exec, s[16:17]                                   // 000000004C00: BEFE0110
	v_mov_b32_e32 v6, v46                                      // 000000004C04: 7E0C032E
	s_mov_b64 s[52:53], 0                                      // 000000004C08: BEB40180
	v_readlane_b32 s72, v3, 4                                  // 000000004C0C: D2890048 00010903
	s_cmp_lt_u32 s72, s62                                      // 000000004C14: BF0A3E48
	s_cselect_b32 s20, s16, s52                                // 000000004C18: 85143410
	v_readlane_b32 s72, v3, 5                                  // 000000004C1C: D2890048 00010B03
	s_cmp_lt_u32 s72, s62                                      // 000000004C24: BF0A3E48
	s_cselect_b32 s21, s16, s52                                // 000000004C28: 85153410
	s_mov_b64 exec, s[20:21]                                   // 000000004C2C: BEFE0114
	global_atomic_add_f32 v6, v44, s[8:9]                      // 000000004C30: DD348000 00082C06
	global_atomic_add_f32 v6, v48, s[8:9] offset:256           // 000000004C38: DD348100 00083006
	s_mov_b64 exec, s[16:17]                                   // 000000004C40: BEFE0110
	v_mov_b32_e32 v6, v47                                      // 000000004C44: 7E0C032F
	s_mov_b64 s[52:53], 0                                      // 000000004C48: BEB40180
	v_readlane_b32 s72, v3, 6                                  // 000000004C4C: D2890048 00010D03
	s_cmp_lt_u32 s72, s62                                      // 000000004C54: BF0A3E48
	s_cselect_b32 s20, s16, s52                                // 000000004C58: 85143410
	v_readlane_b32 s72, v3, 7                                  // 000000004C5C: D2890048 00010F03
	s_cmp_lt_u32 s72, s62                                      // 000000004C64: BF0A3E48
	s_cselect_b32 s21, s16, s52                                // 000000004C68: 85153410
	s_mov_b64 exec, s[20:21]                                   // 000000004C6C: BEFE0114
	global_atomic_add_f32 v6, v45, s[8:9]                      // 000000004C70: DD348000 00082D06
	global_atomic_add_f32 v6, v49, s[8:9] offset:256           // 000000004C78: DD348100 00083106
	s_mov_b64 exec, s[16:17]                                   // 000000004C80: BEFE0110
	ds_write_b64 v16, v[38:39]                                 // 000000004C84: D89A0000 00002610
	ds_write_b64 v16, v[42:43] offset:4352                     // 000000004C8C: D89A1100 00002A10
	ds_write_b64 v16, v[46:47] offset:2176                     // 000000004C94: D89A0880 00002E10
	ds_write_b64 v16, v[50:51] offset:6528                     // 000000004C9C: D89A1980 00003210
	s_waitcnt lgkmcnt(0)                                       // 000000004CA4: BF8CC07F
	s_barrier                                                  // 000000004CA8: BF8A0000
	ds_read_b32 v38, v17                                       // 000000004CAC: D86C0000 26000011
	ds_read_b32 v39, v17 offset:64                             // 000000004CB4: D86C0040 27000011
	ds_read_b32 v42, v17 offset:2176                           // 000000004CBC: D86C0880 2A000011
	ds_read_b32 v43, v17 offset:2240                           // 000000004CC4: D86C08C0 2B000011
	ds_read_b32 v46, v17 offset:4352                           // 000000004CCC: D86C1100 2E000011
	ds_read_b32 v47, v17 offset:4416                           // 000000004CD4: D86C1140 2F000011
	ds_read_b32 v50, v17 offset:6528                           // 000000004CDC: D86C1980 32000011
	ds_read_b32 v51, v17 offset:6592                           // 000000004CE4: D86C19C0 33000011
	s_waitcnt lgkmcnt(0)                                       // 000000004CEC: BF8CC07F
	v_mov_b32_e32 v7, 0                                        // 000000004CF0: 7E0E0280
	s_mov_b64 exec, s[16:17]                                   // 000000004CF4: BEFE0110
	v_mov_b32_e32 v6, v44                                      // 000000004CF8: 7E0C032C
	s_mov_b64 s[52:53], 0                                      // 000000004CFC: BEB40180
	v_readlane_b32 s72, v3, 0                                  // 000000004D00: D2890048 00010103
	s_cmp_lt_u32 s72, s62                                      // 000000004D08: BF0A3E48
	s_cselect_b32 s20, s16, s52                                // 000000004D0C: 85143410
	v_readlane_b32 s72, v3, 1                                  // 000000004D10: D2890048 00010303
	s_cmp_lt_u32 s72, s62                                      // 000000004D18: BF0A3E48
	s_cselect_b32 s21, s16, s52                                // 000000004D1C: 85153410
	s_mov_b64 exec, s[20:21]                                   // 000000004D20: BEFE0114
	global_atomic_add_f32 v6, v38, s[8:9] offset:8             // 000000004D24: DD348008 00082606
	global_atomic_add_f32 v6, v42, s[8:9] offset:264           // 000000004D2C: DD348108 00082A06
	s_mov_b64 exec, s[16:17]                                   // 000000004D34: BEFE0110
	v_mov_b32_e32 v6, v45                                      // 000000004D38: 7E0C032D
	s_mov_b64 s[52:53], 0                                      // 000000004D3C: BEB40180
	v_readlane_b32 s72, v3, 2                                  // 000000004D40: D2890048 00010503
	s_cmp_lt_u32 s72, s62                                      // 000000004D48: BF0A3E48
	s_cselect_b32 s20, s16, s52                                // 000000004D4C: 85143410
	v_readlane_b32 s72, v3, 3                                  // 000000004D50: D2890048 00010703
	s_cmp_lt_u32 s72, s62                                      // 000000004D58: BF0A3E48
	s_cselect_b32 s21, s16, s52                                // 000000004D5C: 85153410
	s_mov_b64 exec, s[20:21]                                   // 000000004D60: BEFE0114
	global_atomic_add_f32 v6, v39, s[8:9] offset:8             // 000000004D64: DD348008 00082706
	global_atomic_add_f32 v6, v43, s[8:9] offset:264           // 000000004D6C: DD348108 00082B06
	s_mov_b64 exec, s[16:17]                                   // 000000004D74: BEFE0110
	v_mov_b32_e32 v6, v46                                      // 000000004D78: 7E0C032E
	s_mov_b64 s[52:53], 0                                      // 000000004D7C: BEB40180
	v_readlane_b32 s72, v3, 4                                  // 000000004D80: D2890048 00010903
	s_cmp_lt_u32 s72, s62                                      // 000000004D88: BF0A3E48
	s_cselect_b32 s20, s16, s52                                // 000000004D8C: 85143410
	v_readlane_b32 s72, v3, 5                                  // 000000004D90: D2890048 00010B03
	s_cmp_lt_u32 s72, s62                                      // 000000004D98: BF0A3E48
	s_cselect_b32 s21, s16, s52                                // 000000004D9C: 85153410
	s_mov_b64 exec, s[20:21]                                   // 000000004DA0: BEFE0114
	global_atomic_add_f32 v6, v46, s[8:9] offset:8             // 000000004DA4: DD348008 00082E06
	global_atomic_add_f32 v6, v50, s[8:9] offset:264           // 000000004DAC: DD348108 00083206
	s_mov_b64 exec, s[16:17]                                   // 000000004DB4: BEFE0110
	v_mov_b32_e32 v6, v47                                      // 000000004DB8: 7E0C032F
	s_mov_b64 s[52:53], 0                                      // 000000004DBC: BEB40180
	v_readlane_b32 s72, v3, 6                                  // 000000004DC0: D2890048 00010D03
	s_cmp_lt_u32 s72, s62                                      // 000000004DC8: BF0A3E48
	s_cselect_b32 s20, s16, s52                                // 000000004DCC: 85143410
	v_readlane_b32 s72, v3, 7                                  // 000000004DD0: D2890048 00010F03
	s_cmp_lt_u32 s72, s62                                      // 000000004DD8: BF0A3E48
	s_cselect_b32 s21, s16, s52                                // 000000004DDC: 85153410
	s_mov_b64 exec, s[20:21]                                   // 000000004DE0: BEFE0114
	global_atomic_add_f32 v6, v47, s[8:9] offset:8             // 000000004DE4: DD348008 00082F06
	global_atomic_add_f32 v6, v51, s[8:9] offset:264           // 000000004DEC: DD348108 00083306
	s_mov_b64 exec, s[16:17]                                   // 000000004DF4: BEFE0110
	ds_write_b64 v16, v[52:53]                                 // 000000004DF8: D89A0000 00003410
	ds_write_b64 v16, v[56:57] offset:4352                     // 000000004E00: D89A1100 00003810
	ds_write_b64 v16, v[60:61] offset:2176                     // 000000004E08: D89A0880 00003C10
	ds_write_b64 v16, v[64:65] offset:6528                     // 000000004E10: D89A1980 00004010
	s_waitcnt lgkmcnt(0)                                       // 000000004E18: BF8CC07F
	s_barrier                                                  // 000000004E1C: BF8A0000
	ds_read_b32 v52, v17                                       // 000000004E20: D86C0000 34000011
	ds_read_b32 v53, v17 offset:64                             // 000000004E28: D86C0040 35000011
	ds_read_b32 v56, v17 offset:2176                           // 000000004E30: D86C0880 38000011
	ds_read_b32 v57, v17 offset:2240                           // 000000004E38: D86C08C0 39000011
	ds_read_b32 v60, v17 offset:4352                           // 000000004E40: D86C1100 3C000011
	ds_read_b32 v61, v17 offset:4416                           // 000000004E48: D86C1140 3D000011
	ds_read_b32 v64, v17 offset:6528                           // 000000004E50: D86C1980 40000011
	ds_read_b32 v65, v17 offset:6592                           // 000000004E58: D86C19C0 41000011
	s_mul_i32 s52, s61, 4                                      // 000000004E60: 9234843D
	s_add_u32 s8, s52, s8                                      // 000000004E64: 80080834
	s_addc_u32 s9, 0, s9                                       // 000000004E68: 82090980
	s_waitcnt lgkmcnt(0)                                       // 000000004E6C: BF8CC07F
	v_mov_b32_e32 v7, 0                                        // 000000004E70: 7E0E0280
	s_mov_b64 exec, s[16:17]                                   // 000000004E74: BEFE0110
	v_mov_b32_e32 v6, v44                                      // 000000004E78: 7E0C032C
	s_mov_b64 s[52:53], 0                                      // 000000004E7C: BEB40180
	v_readlane_b32 s72, v3, 0                                  // 000000004E80: D2890048 00010103
	s_cmp_lt_u32 s72, s62                                      // 000000004E88: BF0A3E48
	s_cselect_b32 s20, s16, s52                                // 000000004E8C: 85143410
	v_readlane_b32 s72, v3, 1                                  // 000000004E90: D2890048 00010303
	s_cmp_lt_u32 s72, s62                                      // 000000004E98: BF0A3E48
	s_cselect_b32 s21, s16, s52                                // 000000004E9C: 85153410
	s_mov_b64 exec, s[20:21]                                   // 000000004EA0: BEFE0114
	global_atomic_add_f32 v6, v52, s[8:9]                      // 000000004EA4: DD348000 00083406
	global_atomic_add_f32 v6, v56, s[8:9] offset:256           // 000000004EAC: DD348100 00083806
	s_mov_b64 exec, s[16:17]                                   // 000000004EB4: BEFE0110
	v_mov_b32_e32 v6, v45                                      // 000000004EB8: 7E0C032D
	s_mov_b64 s[52:53], 0                                      // 000000004EBC: BEB40180
	v_readlane_b32 s72, v3, 2                                  // 000000004EC0: D2890048 00010503
	s_cmp_lt_u32 s72, s62                                      // 000000004EC8: BF0A3E48
	s_cselect_b32 s20, s16, s52                                // 000000004ECC: 85143410
	v_readlane_b32 s72, v3, 3                                  // 000000004ED0: D2890048 00010703
	s_cmp_lt_u32 s72, s62                                      // 000000004ED8: BF0A3E48
	s_cselect_b32 s21, s16, s52                                // 000000004EDC: 85153410
	s_mov_b64 exec, s[20:21]                                   // 000000004EE0: BEFE0114
	global_atomic_add_f32 v6, v53, s[8:9]                      // 000000004EE4: DD348000 00083506
	global_atomic_add_f32 v6, v57, s[8:9] offset:256           // 000000004EEC: DD348100 00083906
	s_mov_b64 exec, s[16:17]                                   // 000000004EF4: BEFE0110
	v_mov_b32_e32 v6, v46                                      // 000000004EF8: 7E0C032E
	s_mov_b64 s[52:53], 0                                      // 000000004EFC: BEB40180
	v_readlane_b32 s72, v3, 4                                  // 000000004F00: D2890048 00010903
	s_cmp_lt_u32 s72, s62                                      // 000000004F08: BF0A3E48
	s_cselect_b32 s20, s16, s52                                // 000000004F0C: 85143410
	v_readlane_b32 s72, v3, 5                                  // 000000004F10: D2890048 00010B03
	s_cmp_lt_u32 s72, s62                                      // 000000004F18: BF0A3E48
	s_cselect_b32 s21, s16, s52                                // 000000004F1C: 85153410
	s_mov_b64 exec, s[20:21]                                   // 000000004F20: BEFE0114
	global_atomic_add_f32 v6, v60, s[8:9]                      // 000000004F24: DD348000 00083C06
	global_atomic_add_f32 v6, v64, s[8:9] offset:256           // 000000004F2C: DD348100 00084006
	s_mov_b64 exec, s[16:17]                                   // 000000004F34: BEFE0110
	v_mov_b32_e32 v6, v47                                      // 000000004F38: 7E0C032F
	s_mov_b64 s[52:53], 0                                      // 000000004F3C: BEB40180
	v_readlane_b32 s72, v3, 6                                  // 000000004F40: D2890048 00010D03
	s_cmp_lt_u32 s72, s62                                      // 000000004F48: BF0A3E48
	s_cselect_b32 s20, s16, s52                                // 000000004F4C: 85143410
	v_readlane_b32 s72, v3, 7                                  // 000000004F50: D2890048 00010F03
	s_cmp_lt_u32 s72, s62                                      // 000000004F58: BF0A3E48
	s_cselect_b32 s21, s16, s52                                // 000000004F5C: 85153410
	s_mov_b64 exec, s[20:21]                                   // 000000004F60: BEFE0114
	global_atomic_add_f32 v6, v61, s[8:9]                      // 000000004F64: DD348000 00083D06
	global_atomic_add_f32 v6, v65, s[8:9] offset:256           // 000000004F6C: DD348100 00084106
	s_mov_b64 exec, s[16:17]                                   // 000000004F74: BEFE0110
	ds_write_b64 v16, v[54:55]                                 // 000000004F78: D89A0000 00003610
	ds_write_b64 v16, v[58:59] offset:4352                     // 000000004F80: D89A1100 00003A10
	ds_write_b64 v16, v[62:63] offset:2176                     // 000000004F88: D89A0880 00003E10
	ds_write_b64 v16, v[66:67] offset:6528                     // 000000004F90: D89A1980 00004210
	s_waitcnt lgkmcnt(0)                                       // 000000004F98: BF8CC07F
	s_barrier                                                  // 000000004F9C: BF8A0000
	ds_read_b32 v54, v17                                       // 000000004FA0: D86C0000 36000011
	ds_read_b32 v55, v17 offset:64                             // 000000004FA8: D86C0040 37000011
	ds_read_b32 v58, v17 offset:2176                           // 000000004FB0: D86C0880 3A000011
	ds_read_b32 v59, v17 offset:2240                           // 000000004FB8: D86C08C0 3B000011
	ds_read_b32 v62, v17 offset:4352                           // 000000004FC0: D86C1100 3E000011
	ds_read_b32 v63, v17 offset:4416                           // 000000004FC8: D86C1140 3F000011
	ds_read_b32 v66, v17 offset:6528                           // 000000004FD0: D86C1980 42000011
	ds_read_b32 v67, v17 offset:6592                           // 000000004FD8: D86C19C0 43000011
	s_waitcnt lgkmcnt(0)                                       // 000000004FE0: BF8CC07F
	v_mov_b32_e32 v7, 0                                        // 000000004FE4: 7E0E0280
	s_mov_b64 exec, s[16:17]                                   // 000000004FE8: BEFE0110
	v_mov_b32_e32 v6, v44                                      // 000000004FEC: 7E0C032C
	s_mov_b64 s[52:53], 0                                      // 000000004FF0: BEB40180
	v_readlane_b32 s72, v3, 0                                  // 000000004FF4: D2890048 00010103
	s_cmp_lt_u32 s72, s62                                      // 000000004FFC: BF0A3E48
	s_cselect_b32 s20, s16, s52                                // 000000005000: 85143410
	v_readlane_b32 s72, v3, 1                                  // 000000005004: D2890048 00010303
	s_cmp_lt_u32 s72, s62                                      // 00000000500C: BF0A3E48
	s_cselect_b32 s21, s16, s52                                // 000000005010: 85153410
	s_mov_b64 exec, s[20:21]                                   // 000000005014: BEFE0114
	global_atomic_add_f32 v6, v54, s[8:9] offset:8             // 000000005018: DD348008 00083606
	global_atomic_add_f32 v6, v58, s[8:9] offset:264           // 000000005020: DD348108 00083A06
	s_mov_b64 exec, s[16:17]                                   // 000000005028: BEFE0110
	v_mov_b32_e32 v6, v45                                      // 00000000502C: 7E0C032D
	s_mov_b64 s[52:53], 0                                      // 000000005030: BEB40180
	v_readlane_b32 s72, v3, 2                                  // 000000005034: D2890048 00010503
	s_cmp_lt_u32 s72, s62                                      // 00000000503C: BF0A3E48
	s_cselect_b32 s20, s16, s52                                // 000000005040: 85143410
	v_readlane_b32 s72, v3, 3                                  // 000000005044: D2890048 00010703
	s_cmp_lt_u32 s72, s62                                      // 00000000504C: BF0A3E48
	s_cselect_b32 s21, s16, s52                                // 000000005050: 85153410
	s_mov_b64 exec, s[20:21]                                   // 000000005054: BEFE0114
	global_atomic_add_f32 v6, v55, s[8:9] offset:8             // 000000005058: DD348008 00083706
	global_atomic_add_f32 v6, v59, s[8:9] offset:264           // 000000005060: DD348108 00083B06
	s_mov_b64 exec, s[16:17]                                   // 000000005068: BEFE0110
	v_mov_b32_e32 v6, v46                                      // 00000000506C: 7E0C032E
	s_mov_b64 s[52:53], 0                                      // 000000005070: BEB40180
	v_readlane_b32 s72, v3, 4                                  // 000000005074: D2890048 00010903
	s_cmp_lt_u32 s72, s62                                      // 00000000507C: BF0A3E48
	s_cselect_b32 s20, s16, s52                                // 000000005080: 85143410
	v_readlane_b32 s72, v3, 5                                  // 000000005084: D2890048 00010B03
	s_cmp_lt_u32 s72, s62                                      // 00000000508C: BF0A3E48
	s_cselect_b32 s21, s16, s52                                // 000000005090: 85153410
	s_mov_b64 exec, s[20:21]                                   // 000000005094: BEFE0114
	global_atomic_add_f32 v6, v62, s[8:9] offset:8             // 000000005098: DD348008 00083E06
	global_atomic_add_f32 v6, v66, s[8:9] offset:264           // 0000000050A0: DD348108 00084206
	s_mov_b64 exec, s[16:17]                                   // 0000000050A8: BEFE0110
	v_mov_b32_e32 v6, v47                                      // 0000000050AC: 7E0C032F
	s_mov_b64 s[52:53], 0                                      // 0000000050B0: BEB40180
	v_readlane_b32 s72, v3, 6                                  // 0000000050B4: D2890048 00010D03
	s_cmp_lt_u32 s72, s62                                      // 0000000050BC: BF0A3E48
	s_cselect_b32 s20, s16, s52                                // 0000000050C0: 85143410
	v_readlane_b32 s72, v3, 7                                  // 0000000050C4: D2890048 00010F03
	s_cmp_lt_u32 s72, s62                                      // 0000000050CC: BF0A3E48
	s_cselect_b32 s21, s16, s52                                // 0000000050D0: 85153410
	s_mov_b64 exec, s[20:21]                                   // 0000000050D4: BEFE0114
	global_atomic_add_f32 v6, v63, s[8:9] offset:8             // 0000000050D8: DD348008 00083F06
	global_atomic_add_f32 v6, v67, s[8:9] offset:264           // 0000000050E0: DD348108 00084306
	s_mov_b64 exec, s[16:17]                                   // 0000000050E8: BEFE0110
	s_branch label_09FF                                        // 0000000050EC: BF820000

00000000000050f0 <label_09FF>:
	s_waitcnt vmcnt(0) expcnt(0) lgkmcnt(0)                    // 0000000050F0: BF8C0000
	s_endpgm                                                   // 0000000050F4: BF810000
